;; amdgpu-corpus repo=ROCm/rocFFT kind=compiled arch=gfx950 opt=O3
	.text
	.amdgcn_target "amdgcn-amd-amdhsa--gfx950"
	.amdhsa_code_object_version 6
	.protected	bluestein_single_back_len1575_dim1_sp_op_CI_CI ; -- Begin function bluestein_single_back_len1575_dim1_sp_op_CI_CI
	.globl	bluestein_single_back_len1575_dim1_sp_op_CI_CI
	.p2align	8
	.type	bluestein_single_back_len1575_dim1_sp_op_CI_CI,@function
bluestein_single_back_len1575_dim1_sp_op_CI_CI: ; @bluestein_single_back_len1575_dim1_sp_op_CI_CI
; %bb.0:
	s_load_dwordx4 s[8:11], s[0:1], 0x28
	v_mul_u32_u24_e32 v1, 0x411, v0
	v_mov_b32_e32 v127, 0
	v_add_u32_sdwa v6, s2, v1 dst_sel:DWORD dst_unused:UNUSED_PAD src0_sel:DWORD src1_sel:WORD_1
	v_mov_b32_e32 v7, v127
	s_waitcnt lgkmcnt(0)
	v_cmp_gt_u64_e32 vcc, s[8:9], v[6:7]
	s_and_saveexec_b64 s[2:3], vcc
	s_cbranch_execz .LBB0_31
; %bb.1:
	s_load_dwordx4 s[4:7], s[0:1], 0x18
	s_load_dwordx2 s[14:15], s[0:1], 0x0
	v_mov_b32_e32 v2, s10
	v_mov_b32_e32 v3, s11
	;; [unrolled: 1-line block ×3, first 2 shown]
	s_waitcnt lgkmcnt(0)
	s_load_dwordx4 s[8:11], s[4:5], 0x0
	v_mul_lo_u16_sdwa v1, v1, v4 dst_sel:DWORD dst_unused:UNUSED_PAD src0_sel:WORD_1 src1_sel:DWORD
	v_sub_u16_e32 v126, v0, v1
	v_accvgpr_write_b32 a40, v6
	v_lshlrev_b32_e32 v214, 3, v126
	s_waitcnt lgkmcnt(0)
	v_mad_u64_u32 v[0:1], s[2:3], s10, v6, 0
	v_mov_b32_e32 v4, v1
	v_mad_u64_u32 v[4:5], s[2:3], s11, v6, v[4:5]
	v_mov_b32_e32 v1, v4
	v_mad_u64_u32 v[4:5], s[2:3], s8, v126, 0
	v_mov_b32_e32 v6, v5
	v_mad_u64_u32 v[6:7], s[2:3], s9, v126, v[6:7]
	s_mul_i32 s2, s9, 0x20d
	s_mul_hi_u32 s3, s8, 0x20d
	v_mov_b32_e32 v215, v127
	s_add_i32 s3, s3, s2
	s_mul_i32 s2, s8, 0x20d
	v_lshl_add_u64 v[12:13], s[14:15], 0, v[214:215]
	s_lshl_b64 s[4:5], s[2:3], 3
	s_movk_i32 s2, 0x1000
	v_mov_b32_e32 v5, v6
	v_lshl_add_u64 v[0:1], v[0:1], 3, v[2:3]
	v_add_co_u32_e32 v2, vcc, s2, v12
	v_lshl_add_u64 v[0:1], v[4:5], 3, v[0:1]
	global_load_dwordx2 v[48:49], v214, s[14:15]
	v_addc_co_u32_e32 v3, vcc, 0, v13, vcc
	s_movk_i32 s2, 0x2000
	v_lshl_add_u64 v[4:5], v[0:1], 0, s[4:5]
	global_load_dwordx2 v[6:7], v[0:1], off
	global_load_dwordx2 v[8:9], v[4:5], off
	global_load_dwordx2 v[46:47], v[2:3], off offset:104
	v_add_co_u32_e32 v0, vcc, s2, v12
	v_lshl_add_u64 v[4:5], v[4:5], 0, s[4:5]
	s_nop 0
	v_addc_co_u32_e32 v1, vcc, 0, v13, vcc
	global_load_dwordx2 v[36:37], v[0:1], off offset:208
	global_load_dwordx2 v[10:11], v[4:5], off
	s_mul_hi_u32 s3, s8, 0xfffffc25
	s_mul_i32 s2, s9, 0xfffffc25
	s_sub_i32 s3, s3, s8
	s_add_i32 s17, s3, s2
	s_mul_i32 s16, s8, 0xfffffc25
	v_accvgpr_write_b32 a0, v12
	s_lshl_b64 s[2:3], s[16:17], 3
	v_accvgpr_write_b32 a1, v13
	v_lshl_add_u64 v[4:5], v[4:5], 0, s[2:3]
	global_load_dwordx2 v[40:41], v214, s[14:15] offset:504
	global_load_dwordx2 v[12:13], v[4:5], off
	v_lshl_add_u64 v[4:5], v[4:5], 0, s[4:5]
	global_load_dwordx2 v[14:15], v[4:5], off
	global_load_dwordx2 v[38:39], v[2:3], off offset:608
	v_lshl_add_u64 v[4:5], v[4:5], 0, s[4:5]
	global_load_dwordx2 v[42:43], v[0:1], off offset:712
	global_load_dwordx2 v[16:17], v[4:5], off
	global_load_dwordx2 v[44:45], v214, s[14:15] offset:1008
	v_lshl_add_u64 v[4:5], v[4:5], 0, s[2:3]
	global_load_dwordx2 v[18:19], v[4:5], off
	global_load_dwordx2 v[76:77], v[2:3], off offset:1112
	v_lshl_add_u64 v[4:5], v[4:5], 0, s[4:5]
	global_load_dwordx2 v[20:21], v[4:5], off
	v_lshl_add_u64 v[4:5], v[4:5], 0, s[4:5]
	s_load_dwordx2 s[12:13], s[0:1], 0x38
	s_load_dwordx4 s[8:11], s[6:7], 0x0
	global_load_dwordx2 v[74:75], v214, s[14:15] offset:1512
	global_load_dwordx2 v[72:73], v[2:3], off offset:1616
	global_load_dwordx2 v[80:81], v[0:1], off offset:1216
	;; [unrolled: 1-line block ×3, first 2 shown]
	global_load_dwordx2 v[22:23], v[4:5], off
	global_load_dwordx2 v[58:59], v[2:3], off offset:2120
	v_lshl_add_u64 v[4:5], v[4:5], 0, s[2:3]
	global_load_dwordx2 v[24:25], v[4:5], off
	v_lshl_add_u64 v[4:5], v[4:5], 0, s[4:5]
	global_load_dwordx2 v[26:27], v[4:5], off
	;; [unrolled: 2-line block ×5, first 2 shown]
	v_lshl_add_u64 v[4:5], v[4:5], 0, s[4:5]
	global_load_dwordx2 v[78:79], v214, s[14:15] offset:2016
	v_cmp_gt_u16_e64 s[6:7], 21, v126
	s_waitcnt vmcnt(27)
	v_accvgpr_write_b32 a53, v49
	v_accvgpr_write_b32 a52, v48
	s_waitcnt vmcnt(26)
	v_mul_f32_e32 v34, v7, v49
	v_mul_f32_e32 v35, v6, v49
	v_fmac_f32_e32 v34, v6, v48
	v_fma_f32 v35, v7, v48, -v35
	s_waitcnt vmcnt(24)
	v_mul_f32_e32 v6, v9, v47
	v_mul_f32_e32 v7, v8, v47
	v_fmac_f32_e32 v6, v8, v46
	v_fma_f32 v7, v9, v46, -v7
	ds_write_b64 v214, v[6:7] offset:4200
	s_waitcnt vmcnt(22)
	v_mul_f32_e32 v8, v11, v37
	v_mul_f32_e32 v6, v10, v37
	v_fmac_f32_e32 v8, v10, v36
	v_fma_f32 v9, v11, v36, -v6
	ds_write_b64 v214, v[8:9] offset:8400
	global_load_dwordx2 v[6:7], v[4:5], off
	global_load_dwordx2 v[64:65], v[0:1], off offset:2224
	v_lshl_add_u64 v[4:5], v[4:5], 0, s[2:3]
	global_load_dwordx2 v[10:11], v[4:5], off
	global_load_dwordx2 v[66:67], v214, s[14:15] offset:2520
	v_lshl_add_u64 v[4:5], v[4:5], 0, s[4:5]
	v_accvgpr_write_b32 a47, v37
	s_waitcnt vmcnt(24)
	v_mul_f32_e32 v8, v13, v41
	v_mul_f32_e32 v9, v12, v41
	v_fmac_f32_e32 v8, v12, v40
	v_fma_f32 v9, v13, v40, -v9
	ds_write2_b64 v214, v[34:35], v[8:9] offset1:63
	global_load_dwordx2 v[12:13], v[4:5], off
	global_load_dwordx2 v[68:69], v[2:3], off offset:2624
	v_lshl_add_u64 v[4:5], v[4:5], 0, s[4:5]
	global_load_dwordx2 v[34:35], v[4:5], off
	global_load_dwordx2 v[62:63], v[0:1], off offset:2728
	v_lshl_add_u64 v[4:5], v[4:5], 0, s[2:3]
	v_accvgpr_write_b32 a46, v36
	s_waitcnt vmcnt(26)
	v_mul_f32_e32 v8, v15, v39
	v_mul_f32_e32 v9, v14, v39
	global_load_dwordx2 v[36:37], v[4:5], off
	global_load_dwordx2 v[60:61], v214, s[14:15] offset:3024
	v_lshl_add_u64 v[4:5], v[4:5], 0, s[4:5]
	v_fmac_f32_e32 v8, v14, v38
	v_fma_f32 v9, v15, v38, -v9
	global_load_dwordx2 v[14:15], v[4:5], off
	global_load_dwordx2 v[56:57], v[2:3], off offset:3128
	v_accvgpr_write_b32 a49, v41
	v_accvgpr_write_b32 a45, v39
	v_lshl_add_u64 v[4:5], v[4:5], 0, s[4:5]
	v_accvgpr_write_b32 a48, v40
	v_accvgpr_write_b32 a44, v38
	s_waitcnt vmcnt(28)
	v_mul_f32_e32 v38, v17, v43
	global_load_dwordx2 v[40:41], v[4:5], off
	global_load_dwordx2 v[50:51], v[0:1], off offset:3232
	v_fmac_f32_e32 v38, v16, v42
	v_mul_f32_e32 v16, v16, v43
	v_accvgpr_write_b32 a42, v42
	v_lshl_add_u64 v[4:5], v[4:5], 0, s[2:3]
	v_accvgpr_write_b32 a43, v43
	v_fma_f32 v39, v17, v42, -v16
	global_load_dwordx2 v[42:43], v[4:5], off
	global_load_dwordx2 v[52:53], v214, s[14:15] offset:3528
	s_waitcnt vmcnt(30)
	v_mul_f32_e32 v16, v19, v45
	v_mul_f32_e32 v17, v18, v45
	v_accvgpr_write_b32 a36, v44
	v_lshl_add_u64 v[4:5], v[4:5], 0, s[4:5]
	v_fmac_f32_e32 v16, v18, v44
	v_accvgpr_write_b32 a37, v45
	v_fma_f32 v17, v19, v44, -v17
	global_load_dwordx2 v[44:45], v[4:5], off
	global_load_dwordx2 v[54:55], v[2:3], off offset:3632
	v_accvgpr_write_b32 a51, v47
	v_lshl_add_u64 v[2:3], v[4:5], 0, s[4:5]
	v_accvgpr_write_b32 a50, v46
	global_load_dwordx2 v[46:47], v[2:3], off
	global_load_dwordx2 v[48:49], v[0:1], off offset:3736
	s_waitcnt vmcnt(32)
	v_mul_f32_e32 v18, v21, v77
	v_mul_f32_e32 v19, v20, v77
	v_fmac_f32_e32 v18, v20, v76
	v_fma_f32 v19, v21, v76, -v19
	v_add_u32_e32 v4, 0x1000, v214
	ds_write2_b64 v4, v[8:9], v[18:19] offset0:76 offset1:139
	s_waitcnt vmcnt(27)
	v_mul_f32_e32 v8, v23, v81
	v_mul_f32_e32 v5, v22, v81
	v_fmac_f32_e32 v8, v22, v80
	v_fma_f32 v9, v23, v80, -v5
	v_add_u32_e32 v5, 0x2000, v214
	ds_write2_b64 v5, v[38:39], v[8:9] offset0:89 offset1:152
	s_waitcnt vmcnt(25)
	v_mul_f32_e32 v8, v25, v75
	v_mul_f32_e32 v9, v24, v75
	v_fmac_f32_e32 v8, v24, v74
	v_fma_f32 v9, v25, v74, -v9
	ds_write2_b64 v214, v[16:17], v[8:9] offset0:126 offset1:189
	s_waitcnt vmcnt(24)
	v_mul_f32_e32 v8, v27, v73
	v_mul_f32_e32 v9, v26, v73
	s_waitcnt vmcnt(21)
	v_mul_f32_e32 v20, v33, v59
	v_mul_f32_e32 v21, v32, v59
	v_fmac_f32_e32 v8, v26, v72
	v_fma_f32 v9, v27, v72, -v9
	v_fmac_f32_e32 v20, v32, v58
	v_fma_f32 v21, v33, v58, -v21
	v_add_u32_e32 v22, 0x1400, v214
	ds_write2_b64 v22, v[8:9], v[20:21] offset0:74 offset1:137
	v_mul_f32_e32 v16, v29, v71
	v_mul_f32_e32 v17, v28, v71
	v_fmac_f32_e32 v16, v28, v70
	v_fma_f32 v17, v29, v70, -v17
	s_waitcnt vmcnt(20)
	v_mul_f32_e32 v18, v31, v79
	s_waitcnt vmcnt(18)
	v_mul_f32_e32 v8, v7, v65
	v_fmac_f32_e32 v8, v6, v64
	v_mul_f32_e32 v6, v6, v65
	v_fma_f32 v9, v7, v64, -v6
	v_add_u32_e32 v6, 0x2400, v214
	v_mul_f32_e32 v19, v30, v79
	ds_write2_b64 v6, v[16:17], v[8:9] offset0:87 offset1:150
	s_waitcnt vmcnt(16)
	v_mul_f32_e32 v8, v11, v67
	v_mul_f32_e32 v6, v10, v67
	v_fmac_f32_e32 v18, v30, v78
	v_fma_f32 v19, v31, v78, -v19
	v_fmac_f32_e32 v8, v10, v66
	v_fma_f32 v9, v11, v66, -v6
	v_add_u32_e32 v6, 0x400, v214
	s_waitcnt vmcnt(14)
	v_mul_f32_e32 v7, v12, v69
	ds_write2_b64 v6, v[18:19], v[8:9] offset0:124 offset1:187
	v_fma_f32 v9, v13, v68, -v7
	s_waitcnt vmcnt(12)
	v_mul_f32_e32 v7, v34, v63
	v_fma_f32 v11, v35, v62, -v7
	s_waitcnt vmcnt(10)
	v_mul_f32_e32 v7, v36, v61
	v_mul_f32_e32 v8, v13, v69
	v_fma_f32 v13, v37, v60, -v7
	s_waitcnt vmcnt(8)
	v_mul_f32_e32 v16, v15, v57
	v_mul_f32_e32 v7, v14, v57
	v_fmac_f32_e32 v8, v12, v68
	v_fmac_f32_e32 v16, v14, v56
	v_fma_f32 v17, v15, v56, -v7
	v_add_u32_e32 v7, 0x1800, v214
	v_mul_f32_e32 v10, v35, v63
	ds_write2_b64 v7, v[8:9], v[16:17] offset0:72 offset1:135
	s_waitcnt vmcnt(6)
	v_mul_f32_e32 v14, v41, v51
	v_mul_f32_e32 v8, v40, v51
	v_fmac_f32_e32 v10, v34, v62
	v_fmac_f32_e32 v14, v40, v50
	v_fma_f32 v15, v41, v50, -v8
	v_add_u32_e32 v8, 0x2800, v214
	v_mul_f32_e32 v12, v37, v61
	ds_write2_b64 v8, v[10:11], v[14:15] offset0:85 offset1:148
	s_waitcnt vmcnt(4)
	v_mul_f32_e32 v10, v43, v53
	v_mul_f32_e32 v9, v42, v53
	v_fmac_f32_e32 v12, v36, v60
	v_fmac_f32_e32 v10, v42, v52
	v_fma_f32 v11, v43, v52, -v9
	v_add_u32_e32 v9, 0x800, v214
	ds_write2_b64 v9, v[12:13], v[10:11] offset0:122 offset1:185
	s_waitcnt vmcnt(2)
	v_mul_f32_e32 v10, v45, v55
	v_mul_f32_e32 v11, v44, v55
	v_fmac_f32_e32 v10, v44, v54
	v_fma_f32 v11, v45, v54, -v11
	v_accvgpr_write_b32 a32, v76
	v_accvgpr_write_b32 a38, v80
	;; [unrolled: 1-line block ×16, first 2 shown]
	ds_write_b64 v214, v[10:11] offset:7728
	s_waitcnt vmcnt(0)
	v_mul_f32_e32 v10, v47, v49
	v_mul_f32_e32 v11, v46, v49
	v_accvgpr_write_b32 a2, v48
	v_accvgpr_write_b32 a33, v77
	;; [unrolled: 1-line block ×17, first 2 shown]
	v_fmac_f32_e32 v10, v46, v48
	v_accvgpr_write_b32 a3, v49
	v_fma_f32 v11, v47, v48, -v11
	v_cmp_lt_u16_e64 s[2:3], 20, v126
	ds_write_b64 v214, v[10:11] offset:11928
	s_and_saveexec_b64 s[18:19], s[6:7]
	s_cbranch_execz .LBB0_3
; %bb.2:
	v_lshl_add_u64 v[2:3], s[16:17], 3, v[2:3]
	v_accvgpr_read_b32 v19, a1
	global_load_dwordx2 v[10:11], v[2:3], off
	v_lshl_add_u64 v[2:3], v[2:3], 0, s[4:5]
	v_accvgpr_read_b32 v18, a0
	global_load_dwordx2 v[12:13], v[2:3], off
	global_load_dwordx2 v[14:15], v[18:19], off offset:4032
	global_load_dwordx2 v[16:17], v[0:1], off offset:40
	v_lshl_add_u64 v[0:1], v[2:3], 0, s[4:5]
	v_add_co_u32_e32 v2, vcc, 0x3000, v18
	s_nop 1
	v_addc_co_u32_e32 v3, vcc, 0, v19, vcc
	global_load_dwordx2 v[18:19], v[2:3], off offset:144
	global_load_dwordx2 v[20:21], v[0:1], off
	s_waitcnt vmcnt(3)
	v_mul_f32_e32 v0, v11, v15
	v_mul_f32_e32 v1, v10, v15
	v_fmac_f32_e32 v0, v10, v14
	v_fma_f32 v1, v11, v14, -v1
	s_waitcnt vmcnt(2)
	v_mul_f32_e32 v2, v13, v17
	v_mul_f32_e32 v3, v12, v17
	ds_write_b64 v214, v[0:1] offset:4032
	v_fmac_f32_e32 v2, v12, v16
	s_waitcnt vmcnt(0)
	v_mul_f32_e32 v0, v21, v19
	v_mul_f32_e32 v1, v20, v19
	v_fma_f32 v3, v13, v16, -v3
	v_fmac_f32_e32 v0, v20, v18
	v_fma_f32 v1, v21, v18, -v1
	ds_write_b64 v214, v[2:3] offset:8232
	ds_write_b64 v214, v[0:1] offset:12432
.LBB0_3:
	s_or_b64 exec, exec, s[18:19]
	s_waitcnt lgkmcnt(0)
	; wave barrier
	s_waitcnt lgkmcnt(0)
	ds_read2_b64 v[36:39], v214 offset1:63
	ds_read2_b64 v[40:43], v4 offset0:13 offset1:76
	ds_read2_b64 v[44:47], v5 offset0:26 offset1:89
	;; [unrolled: 1-line block ×11, first 2 shown]
                                        ; implicit-def: $vgpr56
                                        ; implicit-def: $vgpr58
                                        ; implicit-def: $vgpr60
	s_and_saveexec_b64 s[4:5], s[6:7]
	s_cbranch_execz .LBB0_5
; %bb.4:
	ds_read_b64 v[58:59], v214 offset:4032
	ds_read_b64 v[60:61], v214 offset:8232
	;; [unrolled: 1-line block ×3, first 2 shown]
.LBB0_5:
	s_or_b64 exec, exec, s[4:5]
	s_mov_b64 s[4:5], 0x7e
	v_lshl_add_u64 v[178:179], v[126:127], 0, s[4:5]
	s_mov_b64 s[4:5], 0xbd
	v_lshl_add_u64 v[176:177], v[126:127], 0, s[4:5]
	;; [unrolled: 2-line block ×6, first 2 shown]
	s_mov_b64 s[4:5], 0x1f8
	s_waitcnt lgkmcnt(1)
	v_pk_add_f32 v[78:79], v[58:59], v[60:61]
	v_lshl_add_u64 v[54:55], v[126:127], 0, s[4:5]
	s_waitcnt lgkmcnt(0)
	v_pk_add_f32 v[84:85], v[56:57], v[78:79]
	v_pk_add_f32 v[78:79], v[56:57], v[60:61]
	v_pk_add_f32 v[56:57], v[60:61], v[56:57] neg_lo:[0,1] neg_hi:[0,1]
	s_mov_b32 s4, 0x3f5db3d7
	v_pk_fma_f32 v[58:59], v[78:79], 0.5, v[58:59] op_sel_hi:[1,0,1] neg_lo:[1,0,0] neg_hi:[1,0,0]
	v_pk_mul_f32 v[56:57], v[56:57], s[4:5] op_sel_hi:[1,0]
	v_pk_add_f32 v[62:63], v[36:37], v[40:41]
	v_pk_add_f32 v[86:87], v[58:59], v[56:57] op_sel:[0,1] op_sel_hi:[1,0] neg_lo:[0,1] neg_hi:[0,1]
	v_pk_add_f32 v[88:89], v[56:57], v[58:59] op_sel:[1,0] op_sel_hi:[0,1]
	v_pk_add_f32 v[58:59], v[40:41], v[44:45]
	v_pk_add_f32 v[40:41], v[40:41], v[44:45] neg_lo:[0,1] neg_hi:[0,1]
	v_pk_fma_f32 v[36:37], v[58:59], 0.5, v[36:37] op_sel_hi:[1,0,1] neg_lo:[1,0,0] neg_hi:[1,0,0]
	v_pk_mul_f32 v[40:41], v[40:41], s[4:5] op_sel_hi:[1,0]
	v_mul_lo_u16_e32 v49, 3, v126
	v_pk_add_f32 v[56:57], v[62:63], v[44:45]
	v_pk_add_f32 v[44:45], v[36:37], v[40:41] op_sel:[0,1] op_sel_hi:[1,0]
	v_pk_add_f32 v[36:37], v[36:37], v[40:41] op_sel:[0,1] op_sel_hi:[1,0] neg_lo:[0,1] neg_hi:[0,1]
	v_lshlrev_b32_e32 v104, 3, v49
	v_mov_b32_e32 v40, v44
	v_mov_b32_e32 v41, v37
	s_waitcnt lgkmcnt(0)
	; wave barrier
	ds_write2_b64 v104, v[56:57], v[40:41] offset1:1
	v_pk_add_f32 v[40:41], v[42:43], v[46:47]
	v_pk_add_f32 v[64:65], v[38:39], v[42:43]
	v_pk_fma_f32 v[38:39], v[40:41], 0.5, v[38:39] op_sel_hi:[1,0,1] neg_lo:[1,0,0] neg_hi:[1,0,0]
	v_pk_add_f32 v[40:41], v[42:43], v[46:47] neg_lo:[0,1] neg_hi:[0,1]
	v_lshl_add_u64 v[180:181], v[126:127], 0, 63
	v_mov_b32_e32 v37, v45
	v_pk_mul_f32 v[40:41], v[40:41], s[4:5] op_sel_hi:[1,0]
	ds_write_b64 v104, v[36:37] offset:16
	v_mul_u32_u24_e32 v36, 3, v180
	v_pk_add_f32 v[42:43], v[38:39], v[40:41] op_sel:[0,1] op_sel_hi:[1,0]
	v_pk_add_f32 v[38:39], v[38:39], v[40:41] op_sel:[0,1] op_sel_hi:[1,0] neg_lo:[0,1] neg_hi:[0,1]
	v_lshlrev_b32_e32 v105, 3, v36
	v_mov_b32_e32 v41, v39
	v_mov_b32_e32 v39, v43
	v_pk_add_f32 v[66:67], v[24:25], v[28:29]
	v_pk_add_f32 v[36:37], v[64:65], v[46:47]
	v_mov_b32_e32 v40, v42
	ds_write_b64 v105, v[38:39] offset:16
	v_pk_add_f32 v[38:39], v[28:29], v[32:33]
	v_pk_add_f32 v[28:29], v[28:29], v[32:33] neg_lo:[0,1] neg_hi:[0,1]
	ds_write2_b64 v105, v[36:37], v[40:41] offset1:1
	v_mul_u32_u24_e32 v36, 3, v178
	v_pk_fma_f32 v[24:25], v[38:39], 0.5, v[24:25] op_sel_hi:[1,0,1] neg_lo:[1,0,0] neg_hi:[1,0,0]
	v_pk_mul_f32 v[28:29], v[28:29], s[4:5] op_sel_hi:[1,0]
	v_lshlrev_b32_e32 v106, 3, v36
	v_pk_add_f32 v[36:37], v[66:67], v[32:33]
	v_pk_add_f32 v[32:33], v[24:25], v[28:29] op_sel:[0,1] op_sel_hi:[1,0]
	v_pk_add_f32 v[24:25], v[24:25], v[28:29] op_sel:[0,1] op_sel_hi:[1,0] neg_lo:[0,1] neg_hi:[0,1]
	v_mov_b32_e32 v28, v32
	v_mov_b32_e32 v29, v25
	ds_write2_b64 v106, v[36:37], v[28:29] offset1:1
	v_pk_add_f32 v[28:29], v[30:31], v[34:35]
	v_pk_add_f32 v[68:69], v[26:27], v[30:31]
	v_pk_fma_f32 v[26:27], v[28:29], 0.5, v[26:27] op_sel_hi:[1,0,1] neg_lo:[1,0,0] neg_hi:[1,0,0]
	v_pk_add_f32 v[28:29], v[30:31], v[34:35] neg_lo:[0,1] neg_hi:[0,1]
	v_mov_b32_e32 v25, v33
	v_pk_mul_f32 v[28:29], v[28:29], s[4:5] op_sel_hi:[1,0]
	ds_write_b64 v106, v[24:25] offset:16
	v_mul_u32_u24_e32 v24, 3, v176
	v_pk_add_f32 v[30:31], v[26:27], v[28:29] op_sel:[0,1] op_sel_hi:[1,0]
	v_pk_add_f32 v[26:27], v[26:27], v[28:29] op_sel:[0,1] op_sel_hi:[1,0] neg_lo:[0,1] neg_hi:[0,1]
	v_lshlrev_b32_e32 v107, 3, v24
	v_mov_b32_e32 v29, v27
	v_mov_b32_e32 v27, v31
	v_pk_add_f32 v[70:71], v[12:13], v[16:17]
	v_pk_add_f32 v[24:25], v[68:69], v[34:35]
	v_mov_b32_e32 v28, v30
	ds_write_b64 v107, v[26:27] offset:16
	v_pk_add_f32 v[26:27], v[16:17], v[20:21]
	v_pk_add_f32 v[16:17], v[16:17], v[20:21] neg_lo:[0,1] neg_hi:[0,1]
	ds_write2_b64 v107, v[24:25], v[28:29] offset1:1
	v_mul_u32_u24_e32 v24, 3, v174
	v_pk_fma_f32 v[12:13], v[26:27], 0.5, v[12:13] op_sel_hi:[1,0,1] neg_lo:[1,0,0] neg_hi:[1,0,0]
	v_pk_mul_f32 v[16:17], v[16:17], s[4:5] op_sel_hi:[1,0]
	v_lshlrev_b32_e32 v108, 3, v24
	v_pk_add_f32 v[24:25], v[70:71], v[20:21]
	v_pk_add_f32 v[20:21], v[12:13], v[16:17] op_sel:[0,1] op_sel_hi:[1,0]
	v_pk_add_f32 v[12:13], v[12:13], v[16:17] op_sel:[0,1] op_sel_hi:[1,0] neg_lo:[0,1] neg_hi:[0,1]
	v_mov_b32_e32 v16, v20
	v_mov_b32_e32 v17, v13
	ds_write2_b64 v108, v[24:25], v[16:17] offset1:1
	v_pk_add_f32 v[16:17], v[18:19], v[22:23]
	v_pk_add_f32 v[72:73], v[14:15], v[18:19]
	v_pk_fma_f32 v[14:15], v[16:17], 0.5, v[14:15] op_sel_hi:[1,0,1] neg_lo:[1,0,0] neg_hi:[1,0,0]
	v_pk_add_f32 v[16:17], v[18:19], v[22:23] neg_lo:[0,1] neg_hi:[0,1]
	;; [unrolled: 30-line block ×3, first 2 shown]
	v_mov_b32_e32 v1, v9
	v_pk_mul_f32 v[4:5], v[4:5], s[4:5] op_sel_hi:[1,0]
	ds_write_b64 v110, v[0:1] offset:16
	v_mul_u32_u24_e32 v0, 3, v52
	v_pk_add_f32 v[6:7], v[2:3], v[4:5] op_sel:[0,1] op_sel_hi:[1,0]
	v_pk_add_f32 v[2:3], v[2:3], v[4:5] op_sel:[0,1] op_sel_hi:[1,0] neg_lo:[0,1] neg_hi:[0,1]
	v_lshlrev_b32_e32 v111, 3, v0
	v_pk_add_f32 v[0:1], v[76:77], v[10:11]
	v_mov_b32_e32 v4, v6
	v_mov_b32_e32 v5, v3
	;; [unrolled: 1-line block ×3, first 2 shown]
	v_mul_u32_u24_e32 v212, 3, v54
	ds_write2_b64 v111, v[0:1], v[4:5] offset1:1
	ds_write_b64 v111, v[2:3] offset:16
	s_and_saveexec_b64 s[4:5], s[6:7]
	s_cbranch_execz .LBB0_7
; %bb.6:
	v_lshlrev_b32_e32 v2, 3, v212
	v_mov_b32_e32 v0, v88
	v_mov_b32_e32 v1, v87
	ds_write2_b64 v2, v[84:85], v[0:1] offset1:1
	v_mov_b32_e32 v0, v86
	v_mov_b32_e32 v1, v89
	ds_write_b64 v2, v[0:1] offset:16
.LBB0_7:
	s_or_b64 exec, exec, s[4:5]
	v_add_u32_e32 v0, 0x1000, v214
	v_add_u32_e32 v1, 0x2000, v214
	s_waitcnt lgkmcnt(0)
	; wave barrier
	s_waitcnt lgkmcnt(0)
	ds_read2_b64 v[72:75], v214 offset1:63
	ds_read2_b64 v[80:83], v0 offset0:13 offset1:76
	ds_read2_b64 v[76:79], v1 offset0:26 offset1:89
	;; [unrolled: 1-line block ×5, first 2 shown]
	v_add_u32_e32 v0, 0x400, v214
	ds_read2_b64 v[20:23], v0 offset0:124 offset1:187
	v_add_u32_e32 v4, 0x1800, v214
	v_add_u32_e32 v5, 0x2800, v214
	;; [unrolled: 1-line block ×3, first 2 shown]
	ds_read2_b64 v[56:59], v4 offset0:9 offset1:72
	ds_read2_b64 v[24:27], v5 offset0:22 offset1:85
	;; [unrolled: 1-line block ×5, first 2 shown]
	s_load_dwordx2 s[0:1], s[0:1], 0x8
	s_and_saveexec_b64 s[4:5], s[2:3]
	s_xor_b64 s[4:5], exec, s[4:5]
	s_andn2_saveexec_b64 s[4:5], s[4:5]
	s_cbranch_execz .LBB0_9
; %bb.8:
	ds_read_b64 v[12:13], v214 offset:8232
	ds_read_b64 v[86:87], v214 offset:12432
	;; [unrolled: 1-line block ×3, first 2 shown]
	s_waitcnt lgkmcnt(0)
	v_mov_b32_e32 v88, v12
	v_mov_b32_e32 v89, v87
	;; [unrolled: 1-line block ×3, first 2 shown]
.LBB0_9:
	s_or_b64 exec, exec, s[4:5]
	s_mov_b32 s16, 0xaaab
	s_movk_i32 s5, 0xab
	v_mul_u32_u24_sdwa v14, v54, s16 dst_sel:DWORD dst_unused:UNUSED_PAD src0_sel:WORD_0 src1_sel:DWORD
	v_mul_lo_u16_sdwa v12, v126, s5 dst_sel:DWORD dst_unused:UNUSED_PAD src0_sel:BYTE_0 src1_sel:DWORD
	v_lshrrev_b32_e32 v36, 17, v14
	v_lshrrev_b16_e32 v12, 9, v12
	v_mul_lo_u16_e32 v14, 3, v36
	v_mul_lo_u16_e32 v13, 3, v12
	v_sub_u16_e32 v37, v54, v14
	v_sub_u16_e32 v13, v126, v13
	v_lshlrev_b16_e32 v14, 1, v37
	v_and_b32_e32 v13, 0xff, v13
	v_lshlrev_b32_e32 v14, 3, v14
	s_waitcnt lgkmcnt(0)
	global_load_dwordx4 v[120:123], v14, s[0:1]
	v_lshlrev_b32_e32 v14, 4, v13
	global_load_dwordx4 v[28:31], v14, s[0:1]
	v_mul_lo_u16_sdwa v14, v180, s5 dst_sel:DWORD dst_unused:UNUSED_PAD src0_sel:BYTE_0 src1_sel:DWORD
	v_lshrrev_b16_e32 v39, 9, v14
	v_mul_lo_u16_e32 v14, 3, v39
	v_sub_u16_e32 v14, v180, v14
	v_and_b32_e32 v102, 0xff, v14
	v_lshlrev_b32_e32 v14, 4, v102
	global_load_dwordx4 v[32:35], v14, s[0:1]
	v_mul_lo_u16_sdwa v15, v178, s5 dst_sel:DWORD dst_unused:UNUSED_PAD src0_sel:BYTE_0 src1_sel:DWORD
	v_lshrrev_b16_e32 v100, 9, v15
	v_mul_u32_u24_sdwa v17, v174, s16 dst_sel:DWORD dst_unused:UNUSED_PAD src0_sel:WORD_0 src1_sel:DWORD
	v_mul_lo_u16_e32 v14, 3, v100
	v_mul_lo_u16_sdwa v16, v176, s5 dst_sel:DWORD dst_unused:UNUSED_PAD src0_sel:BYTE_0 src1_sel:DWORD
	v_mul_u32_u24_sdwa v18, v48, s16 dst_sel:DWORD dst_unused:UNUSED_PAD src0_sel:WORD_0 src1_sel:DWORD
	v_mul_u32_u24_sdwa v19, v50, s16 dst_sel:DWORD dst_unused:UNUSED_PAD src0_sel:WORD_0 src1_sel:DWORD
	;; [unrolled: 1-line block ×3, first 2 shown]
	v_lshrrev_b32_e32 v103, 17, v17
	v_sub_u16_e32 v14, v178, v14
	v_lshrrev_b16_e32 v101, 9, v16
	v_lshrrev_b32_e32 v112, 17, v18
	v_lshrrev_b32_e32 v113, 17, v19
	;; [unrolled: 1-line block ×3, first 2 shown]
	v_mul_lo_u16_e32 v16, 3, v103
	v_and_b32_e32 v118, 0xff, v14
	v_mul_lo_u16_e32 v17, 3, v112
	v_mul_lo_u16_e32 v18, 3, v113
	;; [unrolled: 1-line block ×3, first 2 shown]
	v_sub_u16_e32 v114, v174, v16
	v_lshlrev_b32_e32 v16, 4, v118
	v_sub_u16_e32 v115, v48, v17
	v_sub_u16_e32 v116, v50, v18
	;; [unrolled: 1-line block ×3, first 2 shown]
	global_load_dwordx4 v[16:19], v16, s[0:1]
	v_mul_lo_u16_e32 v15, 3, v101
	v_sub_u16_e32 v15, v176, v15
	v_and_b32_e32 v119, 0xff, v15
	v_lshlrev_b16_e32 v14, 1, v114
	v_lshlrev_b16_e32 v15, 1, v115
	;; [unrolled: 1-line block ×3, first 2 shown]
	v_mul_u32_u24_e32 v12, 9, v12
	v_lshlrev_b16_e32 v41, 1, v117
	v_lshlrev_b32_e32 v42, 4, v119
	v_lshlrev_b32_e32 v14, 3, v14
	;; [unrolled: 1-line block ×5, first 2 shown]
	v_add_lshl_u32 v127, v12, v13, 3
	global_load_dwordx4 v[52:55], v42, s[0:1]
	global_load_dwordx4 v[48:51], v14, s[0:1]
	;; [unrolled: 1-line block ×3, first 2 shown]
	s_nop 0
	global_load_dwordx4 v[40:43], v40, s[0:1]
	s_nop 0
	global_load_dwordx4 v[12:15], v90, s[0:1]
	s_mov_b32 s4, 0x3f5db3d7
	s_waitcnt lgkmcnt(0)
	; wave barrier
	v_mul_u32_u24_e32 v39, 9, v39
	v_add_lshl_u32 v39, v39, v102, 3
	v_accvgpr_write_b32 a82, v39
	v_accvgpr_write_b32 a76, v127
	s_waitcnt vmcnt(8)
	v_pk_mul_f32 v[90:91], v[88:89], v[120:121] op_sel_hi:[0,1]
	v_pk_mul_f32 v[92:93], v[86:87], v[122:123] op_sel_hi:[0,1]
	s_waitcnt vmcnt(7)
	v_pk_mul_f32 v[94:95], v[80:81], v[28:29] op_sel:[0,1]
	v_pk_fma_f32 v[98:99], v[86:87], v[120:121], v[90:91] op_sel:[0,0,1] op_sel_hi:[1,1,0] neg_lo:[1,0,0] neg_hi:[1,0,0]
	v_pk_fma_f32 v[90:91], v[86:87], v[120:121], v[90:91] op_sel:[1,0,1] op_sel_hi:[1,1,0]
	v_pk_fma_f32 v[86:87], v[88:89], v[122:123], v[92:93] op_sel:[0,0,1] op_sel_hi:[1,1,0] neg_lo:[1,0,0] neg_hi:[1,0,0]
	v_pk_fma_f32 v[88:89], v[88:89], v[122:123], v[92:93] op_sel:[1,0,1] op_sel_hi:[1,1,0]
	;; [unrolled: 2-line block ×3, first 2 shown]
	v_mov_b32_e32 v89, v87
	v_mov_b32_e32 v80, v99
	;; [unrolled: 1-line block ×8, first 2 shown]
	v_pk_add_f32 v[94:95], v[80:81], v[86:87]
	v_pk_mul_f32 v[96:97], v[76:77], v[96:97] op_sel_hi:[1,0]
	v_pk_add_f32 v[88:89], v[90:91], v[88:89] neg_lo:[0,1] neg_hi:[0,1]
	v_pk_fma_f32 v[90:91], v[94:95], 0.5, v[84:85] op_sel_hi:[1,0,1] neg_lo:[1,0,0] neg_hi:[1,0,0]
	v_accvgpr_write_b32 a68, v120
	v_pk_fma_f32 v[124:125], v[88:89], s[4:5], v[90:91] op_sel_hi:[1,0,1] neg_lo:[1,0,0] neg_hi:[1,0,0]
	v_pk_fma_f32 v[182:183], v[88:89], s[4:5], v[90:91] op_sel_hi:[1,0,1]
	v_pk_fma_f32 v[88:89], v[76:77], v[30:31], v[96:97] op_sel:[0,0,1] op_sel_hi:[1,1,0] neg_lo:[0,0,1] neg_hi:[0,0,1]
	v_pk_fma_f32 v[76:77], v[76:77], v[30:31], v[96:97] op_sel:[0,0,1] op_sel_hi:[1,0,0]
	v_accvgpr_write_b32 a69, v121
	v_mov_b32_e32 v89, v77
	v_pk_add_f32 v[76:77], v[72:73], v[92:93]
	v_pk_add_f32 v[90:91], v[92:93], v[88:89]
	;; [unrolled: 1-line block ×3, first 2 shown]
	v_pk_add_f32 v[88:89], v[92:93], v[88:89] neg_lo:[0,1] neg_hi:[0,1]
	v_pk_fma_f32 v[72:73], v[90:91], 0.5, v[72:73] op_sel_hi:[1,0,1] neg_lo:[1,0,0] neg_hi:[1,0,0]
	v_pk_mul_f32 v[88:89], v[88:89], s[4:5] op_sel_hi:[1,0]
	v_accvgpr_write_b32 a70, v122
	v_pk_add_f32 v[90:91], v[72:73], v[88:89] op_sel:[0,1] op_sel_hi:[1,0]
	v_pk_add_f32 v[72:73], v[72:73], v[88:89] op_sel:[0,1] op_sel_hi:[1,0] neg_lo:[0,1] neg_hi:[0,1]
	v_mov_b32_e32 v88, v90
	v_mov_b32_e32 v89, v73
	v_mov_b32_e32 v73, v91
	ds_write_b64 v127, v[72:73] offset:48
	s_waitcnt vmcnt(6)
	v_pk_mul_f32 v[72:73], v[82:83], v[32:33] op_sel:[0,1]
	ds_write2_b64 v127, v[76:77], v[88:89] offset1:3
	v_pk_fma_f32 v[76:77], v[82:83], v[32:33], v[72:73] op_sel:[0,0,1] op_sel_hi:[1,1,0] neg_lo:[0,0,1] neg_hi:[0,0,1]
	v_pk_fma_f32 v[72:73], v[82:83], v[32:33], v[72:73] op_sel:[0,0,1] op_sel_hi:[1,0,0]
	v_accvgpr_write_b32 a71, v123
	v_mov_b32_e32 v72, v35
	v_mov_b32_e32 v77, v73
	v_pk_mul_f32 v[72:73], v[78:79], v[72:73] op_sel_hi:[1,0]
	s_nop 0
	v_pk_fma_f32 v[82:83], v[78:79], v[34:35], v[72:73] op_sel:[0,0,1] op_sel_hi:[1,1,0] neg_lo:[0,0,1] neg_hi:[0,0,1]
	v_pk_fma_f32 v[72:73], v[78:79], v[34:35], v[72:73] op_sel:[0,0,1] op_sel_hi:[1,0,0]
	s_nop 0
	v_mov_b32_e32 v83, v73
	v_pk_add_f32 v[72:73], v[74:75], v[76:77]
	v_pk_add_f32 v[78:79], v[76:77], v[82:83]
	v_pk_add_f32 v[76:77], v[76:77], v[82:83] neg_lo:[0,1] neg_hi:[0,1]
	v_pk_fma_f32 v[74:75], v[78:79], 0.5, v[74:75] op_sel_hi:[1,0,1] neg_lo:[1,0,0] neg_hi:[1,0,0]
	v_pk_mul_f32 v[76:77], v[76:77], s[4:5] op_sel_hi:[1,0]
	v_pk_add_f32 v[72:73], v[72:73], v[82:83]
	v_pk_add_f32 v[78:79], v[74:75], v[76:77] op_sel:[0,1] op_sel_hi:[1,0]
	v_pk_add_f32 v[74:75], v[74:75], v[76:77] op_sel:[0,1] op_sel_hi:[1,0] neg_lo:[0,1] neg_hi:[0,1]
	v_mov_b32_e32 v76, v78
	v_mov_b32_e32 v77, v75
	ds_write2_b64 v39, v[72:73], v[76:77] offset1:3
	v_mov_b32_e32 v75, v79
	s_waitcnt vmcnt(5)
	v_pk_mul_f32 v[72:73], v[68:69], v[16:17] op_sel:[0,1]
	ds_write_b64 v39, v[74:75] offset:48
	v_pk_fma_f32 v[74:75], v[68:69], v[16:17], v[72:73] op_sel:[0,0,1] op_sel_hi:[1,1,0] neg_lo:[0,0,1] neg_hi:[0,0,1]
	v_pk_fma_f32 v[68:69], v[68:69], v[16:17], v[72:73] op_sel:[0,0,1] op_sel_hi:[1,0,0]
	v_mul_u32_u24_e32 v39, 9, v100
	v_mov_b32_e32 v68, v19
	v_mov_b32_e32 v75, v69
	v_pk_mul_f32 v[68:69], v[64:65], v[68:69] op_sel_hi:[1,0]
	v_add_lshl_u32 v39, v39, v118, 3
	v_pk_fma_f32 v[72:73], v[64:65], v[18:19], v[68:69] op_sel:[0,0,1] op_sel_hi:[1,1,0] neg_lo:[0,0,1] neg_hi:[0,0,1]
	v_pk_fma_f32 v[64:65], v[64:65], v[18:19], v[68:69] op_sel:[0,0,1] op_sel_hi:[1,0,0]
	v_accvgpr_write_b32 a83, v39
	v_mov_b32_e32 v73, v65
	v_pk_add_f32 v[68:69], v[74:75], v[72:73]
	v_pk_add_f32 v[64:65], v[60:61], v[74:75]
	v_pk_fma_f32 v[60:61], v[68:69], 0.5, v[60:61] op_sel_hi:[1,0,1] neg_lo:[1,0,0] neg_hi:[1,0,0]
	v_pk_add_f32 v[68:69], v[74:75], v[72:73] neg_lo:[0,1] neg_hi:[0,1]
	v_pk_add_f32 v[64:65], v[64:65], v[72:73]
	v_pk_mul_f32 v[68:69], v[68:69], s[4:5] op_sel_hi:[1,0]
	s_nop 0
	v_pk_add_f32 v[72:73], v[60:61], v[68:69] op_sel:[0,1] op_sel_hi:[1,0]
	v_pk_add_f32 v[60:61], v[60:61], v[68:69] op_sel:[0,1] op_sel_hi:[1,0] neg_lo:[0,1] neg_hi:[0,1]
	v_mov_b32_e32 v68, v72
	v_mov_b32_e32 v69, v61
	;; [unrolled: 1-line block ×3, first 2 shown]
	ds_write_b64 v39, v[60:61] offset:48
	s_waitcnt vmcnt(4)
	v_pk_mul_f32 v[60:61], v[70:71], v[52:53] op_sel:[0,1]
	ds_write2_b64 v39, v[64:65], v[68:69] offset1:3
	v_pk_fma_f32 v[64:65], v[70:71], v[52:53], v[60:61] op_sel:[0,0,1] op_sel_hi:[1,1,0] neg_lo:[0,0,1] neg_hi:[0,0,1]
	v_pk_fma_f32 v[60:61], v[70:71], v[52:53], v[60:61] op_sel:[0,0,1] op_sel_hi:[1,0,0]
	v_mul_u32_u24_e32 v39, 9, v101
	v_mov_b32_e32 v60, v55
	v_mov_b32_e32 v65, v61
	v_pk_mul_f32 v[60:61], v[66:67], v[60:61] op_sel_hi:[1,0]
	v_add_lshl_u32 v39, v39, v119, 3
	v_pk_fma_f32 v[68:69], v[66:67], v[54:55], v[60:61] op_sel:[0,0,1] op_sel_hi:[1,1,0] neg_lo:[0,0,1] neg_hi:[0,0,1]
	v_pk_fma_f32 v[60:61], v[66:67], v[54:55], v[60:61] op_sel:[0,0,1] op_sel_hi:[1,0,0]
	v_accvgpr_write_b32 a84, v39
	v_mov_b32_e32 v69, v61
	v_pk_add_f32 v[60:61], v[62:63], v[64:65]
	v_pk_add_f32 v[66:67], v[64:65], v[68:69]
	v_pk_add_f32 v[64:65], v[64:65], v[68:69] neg_lo:[0,1] neg_hi:[0,1]
	v_pk_fma_f32 v[62:63], v[66:67], 0.5, v[62:63] op_sel_hi:[1,0,1] neg_lo:[1,0,0] neg_hi:[1,0,0]
	v_pk_mul_f32 v[64:65], v[64:65], s[4:5] op_sel_hi:[1,0]
	v_pk_add_f32 v[60:61], v[60:61], v[68:69]
	v_pk_add_f32 v[66:67], v[62:63], v[64:65] op_sel:[0,1] op_sel_hi:[1,0]
	v_pk_add_f32 v[62:63], v[62:63], v[64:65] op_sel:[0,1] op_sel_hi:[1,0] neg_lo:[0,1] neg_hi:[0,1]
	v_mov_b32_e32 v64, v66
	v_mov_b32_e32 v65, v63
	ds_write2_b64 v39, v[60:61], v[64:65] offset1:3
	v_mov_b32_e32 v63, v67
	s_waitcnt vmcnt(3)
	v_pk_mul_f32 v[60:61], v[56:57], v[48:49] op_sel:[0,1]
	ds_write_b64 v39, v[62:63] offset:48
	v_pk_fma_f32 v[62:63], v[56:57], v[48:49], v[60:61] op_sel:[0,0,1] op_sel_hi:[1,1,0] neg_lo:[0,0,1] neg_hi:[0,0,1]
	v_pk_fma_f32 v[56:57], v[56:57], v[48:49], v[60:61] op_sel:[0,0,1] op_sel_hi:[1,0,0]
	v_mad_legacy_u16 v39, v103, 9, v114
	v_mov_b32_e32 v56, v51
	v_mov_b32_e32 v63, v57
	v_pk_mul_f32 v[56:57], v[24:25], v[56:57] op_sel_hi:[1,0]
	v_lshlrev_b32_e32 v39, 3, v39
	v_pk_fma_f32 v[60:61], v[24:25], v[50:51], v[56:57] op_sel:[0,0,1] op_sel_hi:[1,1,0] neg_lo:[0,0,1] neg_hi:[0,0,1]
	v_pk_fma_f32 v[24:25], v[24:25], v[50:51], v[56:57] op_sel:[0,0,1] op_sel_hi:[1,0,0]
	v_accvgpr_write_b32 a90, v39
	v_mov_b32_e32 v61, v25
	v_pk_add_f32 v[24:25], v[62:63], v[60:61]
	v_pk_add_f32 v[56:57], v[62:63], v[60:61] neg_lo:[0,1] neg_hi:[0,1]
	v_pk_fma_f32 v[24:25], v[24:25], 0.5, v[20:21] op_sel_hi:[1,0,1] neg_lo:[1,0,0] neg_hi:[1,0,0]
	v_pk_mul_f32 v[56:57], v[56:57], s[4:5] op_sel_hi:[1,0]
	v_pk_add_f32 v[20:21], v[20:21], v[62:63]
	v_pk_add_f32 v[64:65], v[24:25], v[56:57] op_sel:[0,1] op_sel_hi:[1,0] neg_lo:[0,1] neg_hi:[0,1]
	v_pk_add_f32 v[24:25], v[24:25], v[56:57] op_sel:[0,1] op_sel_hi:[1,0]
	v_pk_add_f32 v[20:21], v[20:21], v[60:61]
	v_mov_b32_e32 v56, v24
	v_mov_b32_e32 v57, v65
	ds_write2_b64 v39, v[20:21], v[56:57] offset1:3
	v_mov_b32_e32 v65, v25
	v_mad_legacy_u16 v20, v112, 9, v115
	ds_write_b64 v39, v[64:65] offset:48
	v_lshlrev_b32_e32 v39, 3, v20
	s_waitcnt vmcnt(2)
	v_pk_mul_f32 v[20:21], v[58:59], v[44:45] op_sel:[0,1]
	v_accvgpr_write_b32 a91, v39
	v_pk_fma_f32 v[24:25], v[58:59], v[44:45], v[20:21] op_sel:[0,0,1] op_sel_hi:[1,1,0] neg_lo:[0,0,1] neg_hi:[0,0,1]
	v_pk_fma_f32 v[20:21], v[58:59], v[44:45], v[20:21] op_sel:[0,0,1] op_sel_hi:[1,0,0]
	s_nop 0
	v_mov_b32_e32 v20, v47
	v_mov_b32_e32 v25, v21
	v_pk_mul_f32 v[20:21], v[26:27], v[20:21] op_sel_hi:[1,0]
	s_nop 0
	v_pk_fma_f32 v[56:57], v[26:27], v[46:47], v[20:21] op_sel:[0,0,1] op_sel_hi:[1,1,0] neg_lo:[0,0,1] neg_hi:[0,0,1]
	v_pk_fma_f32 v[20:21], v[26:27], v[46:47], v[20:21] op_sel:[0,0,1] op_sel_hi:[1,0,0]
	s_nop 0
	v_mov_b32_e32 v57, v21
	v_pk_add_f32 v[20:21], v[24:25], v[56:57]
	v_pk_add_f32 v[26:27], v[24:25], v[56:57] neg_lo:[0,1] neg_hi:[0,1]
	v_pk_fma_f32 v[20:21], v[20:21], 0.5, v[22:23] op_sel_hi:[1,0,1] neg_lo:[1,0,0] neg_hi:[1,0,0]
	v_pk_mul_f32 v[26:27], v[26:27], s[4:5] op_sel_hi:[1,0]
	v_pk_add_f32 v[22:23], v[22:23], v[24:25]
	v_pk_add_f32 v[58:59], v[20:21], v[26:27] op_sel:[0,1] op_sel_hi:[1,0] neg_lo:[0,1] neg_hi:[0,1]
	v_pk_add_f32 v[20:21], v[20:21], v[26:27] op_sel:[0,1] op_sel_hi:[1,0]
	v_pk_add_f32 v[22:23], v[22:23], v[56:57]
	v_mov_b32_e32 v24, v20
	v_mad_legacy_u16 v20, v113, 9, v116
	v_mov_b32_e32 v25, v59
	v_mov_b32_e32 v59, v21
	v_lshlrev_b32_e32 v26, 3, v20
	s_waitcnt vmcnt(1)
	v_pk_mul_f32 v[20:21], v[8:9], v[40:41] op_sel:[0,1]
	ds_write2_b64 v39, v[22:23], v[24:25] offset1:3
	v_pk_fma_f32 v[22:23], v[8:9], v[40:41], v[20:21] op_sel:[0,0,1] op_sel_hi:[1,1,0] neg_lo:[0,0,1] neg_hi:[0,0,1]
	v_pk_fma_f32 v[8:9], v[8:9], v[40:41], v[20:21] op_sel:[0,0,1] op_sel_hi:[1,0,0]
	ds_write_b64 v39, v[58:59] offset:48
	v_mov_b32_e32 v8, v43
	v_mov_b32_e32 v23, v9
	v_pk_mul_f32 v[8:9], v[4:5], v[8:9] op_sel_hi:[1,0]
	v_accvgpr_write_b32 a92, v26
	v_pk_fma_f32 v[20:21], v[4:5], v[42:43], v[8:9] op_sel:[0,0,1] op_sel_hi:[1,1,0] neg_lo:[0,0,1] neg_hi:[0,0,1]
	v_pk_fma_f32 v[4:5], v[4:5], v[42:43], v[8:9] op_sel:[0,0,1] op_sel_hi:[1,0,0]
	s_nop 0
	v_mov_b32_e32 v21, v5
	v_pk_add_f32 v[4:5], v[22:23], v[20:21]
	v_pk_add_f32 v[8:9], v[22:23], v[20:21] neg_lo:[0,1] neg_hi:[0,1]
	v_pk_fma_f32 v[4:5], v[4:5], 0.5, v[0:1] op_sel_hi:[1,0,1] neg_lo:[1,0,0] neg_hi:[1,0,0]
	v_pk_mul_f32 v[8:9], v[8:9], s[4:5] op_sel_hi:[1,0]
	v_pk_add_f32 v[0:1], v[0:1], v[22:23]
	v_pk_add_f32 v[24:25], v[4:5], v[8:9] op_sel:[0,1] op_sel_hi:[1,0] neg_lo:[0,1] neg_hi:[0,1]
	v_pk_add_f32 v[4:5], v[4:5], v[8:9] op_sel:[0,1] op_sel_hi:[1,0]
	v_pk_add_f32 v[0:1], v[0:1], v[20:21]
	v_mov_b32_e32 v8, v4
	v_mov_b32_e32 v9, v25
	ds_write2_b64 v26, v[0:1], v[8:9] offset1:3
	v_mad_legacy_u16 v0, v38, 9, v117
	v_lshlrev_b32_e32 v20, 3, v0
	s_waitcnt vmcnt(0)
	v_pk_mul_f32 v[0:1], v[10:11], v[12:13] op_sel:[0,1]
	v_mov_b32_e32 v25, v5
	v_pk_fma_f32 v[4:5], v[10:11], v[12:13], v[0:1] op_sel:[0,0,1] op_sel_hi:[1,1,0] neg_lo:[0,0,1] neg_hi:[0,0,1]
	v_pk_fma_f32 v[0:1], v[10:11], v[12:13], v[0:1] op_sel:[0,0,1] op_sel_hi:[1,0,0]
	v_accvgpr_write_b32 a93, v20
	v_mov_b32_e32 v0, v15
	v_mov_b32_e32 v5, v1
	v_pk_mul_f32 v[0:1], v[6:7], v[0:1] op_sel_hi:[1,0]
	ds_write_b64 v26, v[24:25] offset:48
	v_pk_fma_f32 v[8:9], v[6:7], v[14:15], v[0:1] op_sel:[0,0,1] op_sel_hi:[1,1,0] neg_lo:[0,0,1] neg_hi:[0,0,1]
	v_pk_fma_f32 v[0:1], v[6:7], v[14:15], v[0:1] op_sel:[0,0,1] op_sel_hi:[1,0,0]
	s_nop 0
	v_mov_b32_e32 v9, v1
	v_pk_add_f32 v[0:1], v[4:5], v[8:9]
	v_pk_add_f32 v[6:7], v[4:5], v[8:9] neg_lo:[0,1] neg_hi:[0,1]
	v_pk_fma_f32 v[0:1], v[0:1], 0.5, v[2:3] op_sel_hi:[1,0,1] neg_lo:[1,0,0] neg_hi:[1,0,0]
	v_pk_mul_f32 v[6:7], v[6:7], s[4:5] op_sel_hi:[1,0]
	v_pk_add_f32 v[2:3], v[2:3], v[4:5]
	v_pk_add_f32 v[10:11], v[0:1], v[6:7] op_sel:[0,1] op_sel_hi:[1,0] neg_lo:[0,1] neg_hi:[0,1]
	v_pk_add_f32 v[0:1], v[0:1], v[6:7] op_sel:[0,1] op_sel_hi:[1,0]
	v_pk_add_f32 v[2:3], v[2:3], v[8:9]
	v_mov_b32_e32 v4, v0
	v_mad_legacy_u16 v0, v36, 9, v37
	v_mov_b32_e32 v5, v11
	v_mov_b32_e32 v11, v1
	v_accvgpr_write_b32 a107, v0
	ds_write2_b64 v20, v[2:3], v[4:5] offset1:3
	ds_write_b64 v20, v[10:11] offset:48
	s_and_saveexec_b64 s[4:5], s[6:7]
	s_cbranch_execz .LBB0_11
; %bb.10:
	v_accvgpr_read_b32 v0, a107
	v_lshlrev_b32_e32 v4, 3, v0
	v_pk_add_f32 v[0:1], v[84:85], v[80:81]
	v_mov_b32_e32 v2, v182
	v_pk_add_f32 v[0:1], v[0:1], v[86:87]
	v_mov_b32_e32 v3, v125
	ds_write2_b64 v4, v[0:1], v[2:3] offset1:3
	v_mov_b32_e32 v0, v124
	v_mov_b32_e32 v1, v183
	ds_write_b64 v4, v[0:1] offset:48
.LBB0_11:
	s_or_b64 exec, exec, s[4:5]
	s_mov_b32 s4, 0xe38f
	v_mul_u32_u24_sdwa v0, v174, s4 dst_sel:DWORD dst_unused:UNUSED_PAD src0_sel:WORD_0 src1_sel:DWORD
	v_lshrrev_b32_e32 v36, 19, v0
	v_mul_lo_u16_e32 v0, 9, v36
	v_sub_u16_e32 v37, v174, v0
	v_lshlrev_b16_e32 v0, 5, v37
	v_mov_b32_e32 v1, 0
	v_lshl_add_u64 v[0:1], s[0:1], 0, v[0:1]
	s_waitcnt lgkmcnt(0)
	; wave barrier
	s_waitcnt lgkmcnt(0)
	global_load_dwordx4 v[96:99], v[0:1], off offset:48
	global_load_dwordx4 v[84:87], v[0:1], off offset:64
	v_mov_b32_e32 v0, 57
	v_mul_lo_u16_sdwa v9, v176, v0 dst_sel:DWORD dst_unused:UNUSED_PAD src0_sel:BYTE_0 src1_sel:DWORD
	v_mul_lo_u16_sdwa v6, v126, v0 dst_sel:DWORD dst_unused:UNUSED_PAD src0_sel:BYTE_0 src1_sel:DWORD
	v_lshrrev_b16_e32 v62, 9, v9
	v_lshrrev_b16_e32 v61, 9, v6
	v_mul_lo_u16_e32 v6, 9, v62
	v_sub_u16_e32 v6, v176, v6
	v_and_b32_e32 v63, 0xff, v6
	v_add_u32_e32 v1, 0x400, v214
	v_lshlrev_b32_e32 v6, 5, v63
	v_add_u32_e32 v38, 0xc00, v214
	v_add_u32_e32 v39, 0x1800, v214
	;; [unrolled: 1-line block ×3, first 2 shown]
	ds_read_b64 v[4:5], v214 offset:12096
	v_mul_lo_u16_sdwa v7, v180, v0 dst_sel:DWORD dst_unused:UNUSED_PAD src0_sel:BYTE_0 src1_sel:DWORD
	v_mul_lo_u16_sdwa v8, v178, v0 dst_sel:DWORD dst_unused:UNUSED_PAD src0_sel:BYTE_0 src1_sel:DWORD
	ds_read2_b64 v[0:3], v1 offset0:124 offset1:187
	ds_read2_b64 v[64:67], v38 offset0:120 offset1:183
	;; [unrolled: 1-line block ×4, first 2 shown]
	global_load_dwordx4 v[88:91], v6, s[0:1] offset:64
	global_load_dwordx4 v[100:103], v6, s[0:1] offset:48
	v_lshrrev_b16_e32 v120, 9, v7
	v_lshrrev_b16_e32 v121, 9, v8
	v_mul_lo_u16_e32 v6, 9, v61
	v_mul_lo_u16_e32 v7, 9, v120
	;; [unrolled: 1-line block ×3, first 2 shown]
	v_sub_u16_e32 v6, v126, v6
	v_sub_u16_e32 v7, v180, v7
	;; [unrolled: 1-line block ×3, first 2 shown]
	v_and_b32_e32 v122, 0xff, v6
	v_and_b32_e32 v123, 0xff, v7
	v_mov_b32_e32 v186, v126
	v_and_b32_e32 v126, 0xff, v8
	v_lshlrev_b32_e32 v6, 5, v122
	v_lshlrev_b32_e32 v7, 5, v123
	;; [unrolled: 1-line block ×3, first 2 shown]
	global_load_dwordx4 v[154:157], v6, s[0:1] offset:64
	global_load_dwordx4 v[162:165], v6, s[0:1] offset:48
	;; [unrolled: 1-line block ×6, first 2 shown]
	s_mov_b32 s16, 0x3f737871
	s_mov_b32 s18, 0x3f167918
	;; [unrolled: 1-line block ×3, first 2 shown]
	v_add_u32_e32 v170, 0x1000, v214
	v_accvgpr_write_b32 a30, v186
	v_cmp_lt_u16_e32 vcc, 35, v186
	s_waitcnt vmcnt(9) lgkmcnt(2)
	v_pk_mul_f32 v[6:7], v[66:67], v[96:97] op_sel:[0,1]
	v_mov_b32_e32 v10, v99
	s_waitcnt vmcnt(8) lgkmcnt(0)
	v_pk_mul_f32 v[20:21], v[118:119], v[84:85] op_sel:[0,1]
	v_mov_b32_e32 v22, v87
	v_pk_fma_f32 v[8:9], v[66:67], v[96:97], v[6:7] op_sel:[0,0,1] op_sel_hi:[1,1,0] neg_lo:[0,0,1] neg_hi:[0,0,1]
	v_pk_fma_f32 v[6:7], v[66:67], v[96:97], v[6:7] op_sel:[0,0,1] op_sel_hi:[1,0,0]
	v_pk_mul_f32 v[24:25], v[112:113], v[10:11] op_sel_hi:[1,0]
	v_pk_fma_f32 v[10:11], v[118:119], v[84:85], v[20:21] op_sel:[0,0,1] op_sel_hi:[1,1,0] neg_lo:[0,0,1] neg_hi:[0,0,1]
	v_pk_fma_f32 v[26:27], v[118:119], v[84:85], v[20:21] op_sel:[0,0,1] op_sel_hi:[1,0,0]
	v_pk_mul_f32 v[56:57], v[4:5], v[22:23] op_sel_hi:[1,0]
	v_mov_b32_e32 v9, v7
	v_pk_fma_f32 v[20:21], v[112:113], v[98:99], v[24:25] op_sel:[0,0,1] op_sel_hi:[1,1,0] neg_lo:[0,0,1] neg_hi:[0,0,1]
	v_pk_fma_f32 v[6:7], v[112:113], v[98:99], v[24:25] op_sel:[0,0,1] op_sel_hi:[1,0,0]
	v_mov_b32_e32 v11, v27
	v_pk_fma_f32 v[22:23], v[4:5], v[86:87], v[56:57] op_sel:[0,0,1] op_sel_hi:[1,1,0] neg_lo:[0,0,1] neg_hi:[0,0,1]
	v_pk_fma_f32 v[4:5], v[4:5], v[86:87], v[56:57] op_sel:[0,0,1] op_sel_hi:[1,0,0]
	v_mov_b32_e32 v21, v7
	v_mov_b32_e32 v23, v5
	v_pk_add_f32 v[4:5], v[20:21], v[10:11]
	v_pk_add_f32 v[6:7], v[8:9], v[22:23] neg_lo:[0,1] neg_hi:[0,1]
	v_pk_add_f32 v[24:25], v[8:9], v[20:21] neg_lo:[0,1] neg_hi:[0,1]
	;; [unrolled: 1-line block ×3, first 2 shown]
	v_pk_add_f32 v[58:59], v[8:9], v[22:23]
	v_pk_add_f32 v[66:67], v[20:21], v[8:9] neg_lo:[0,1] neg_hi:[0,1]
	v_pk_add_f32 v[112:113], v[10:11], v[22:23] neg_lo:[0,1] neg_hi:[0,1]
	v_pk_fma_f32 v[4:5], v[4:5], 0.5, v[0:1] op_sel_hi:[1,0,1] neg_lo:[1,0,0] neg_hi:[1,0,0]
	v_pk_add_f32 v[56:57], v[20:21], v[10:11] neg_lo:[0,1] neg_hi:[0,1]
	v_pk_add_f32 v[24:25], v[24:25], v[26:27]
	v_pk_fma_f32 v[26:27], v[58:59], 0.5, v[0:1] op_sel_hi:[1,0,1] neg_lo:[1,0,0] neg_hi:[1,0,0]
	v_pk_add_f32 v[58:59], v[66:67], v[112:113]
	v_pk_fma_f32 v[66:67], v[6:7], s[16:17], v[4:5] op_sel:[1,0,0] op_sel_hi:[0,0,1] neg_lo:[1,0,0] neg_hi:[1,0,0]
	v_pk_fma_f32 v[4:5], v[6:7], s[16:17], v[4:5] op_sel:[1,0,0] op_sel_hi:[0,0,1]
	v_pk_fma_f32 v[112:113], v[56:57], s[16:17], v[26:27] op_sel:[1,0,0] op_sel_hi:[0,0,1] neg_lo:[1,0,0] neg_hi:[1,0,0]
	v_pk_fma_f32 v[118:119], v[56:57], s[16:17], v[26:27] op_sel:[1,0,0] op_sel_hi:[0,0,1]
	v_pk_fma_f32 v[26:27], v[56:57], s[18:19], v[4:5] op_sel:[1,0,0] op_sel_hi:[0,0,1]
	v_pk_fma_f32 v[56:57], v[56:57], s[18:19], v[66:67] op_sel:[1,0,0] op_sel_hi:[0,0,1] neg_lo:[1,0,0] neg_hi:[1,0,0]
	v_pk_fma_f32 v[4:5], v[6:7], s[18:19], v[118:119] op_sel:[1,0,0] op_sel_hi:[0,0,1] neg_lo:[1,0,0] neg_hi:[1,0,0]
	v_mov_b32_e32 v66, v56
	v_mov_b32_e32 v67, v27
	v_pk_fma_f32 v[6:7], v[6:7], s[18:19], v[112:113] op_sel:[1,0,0] op_sel_hi:[0,0,1]
	v_pk_fma_f32 v[160:161], v[24:25], s[4:5], v[66:67] op_sel_hi:[1,0,1]
	v_mov_b32_e32 v67, v5
	v_mov_b32_e32 v5, v7
	v_pk_fma_f32 v[158:159], v[58:59], s[4:5], v[4:5] op_sel_hi:[1,0,1]
	v_mul_u32_u24_e32 v4, 45, v61
	v_add_lshl_u32 v71, v4, v122, 3
	v_mul_u32_u24_e32 v4, 45, v120
	v_add_u32_e32 v61, 0x1400, v214
	v_add_lshl_u32 v70, v4, v123, 3
	v_mul_u32_u24_e32 v4, 45, v121
	ds_read2_b64 v[118:121], v61 offset0:116 offset1:179
	v_mov_b32_e32 v66, v6
	v_add_lshl_u32 v69, v4, v126, 3
	v_mul_u32_u24_e32 v4, 45, v62
	v_add_u32_e32 v62, 0x2800, v214
	v_pk_fma_f32 v[152:153], v[58:59], s[4:5], v[66:67] op_sel_hi:[1,0,1]
	ds_read2_b64 v[126:129], v62 offset0:106 offset1:169
	s_waitcnt vmcnt(6)
	v_pk_mul_f32 v[66:67], v[64:65], v[100:101] op_sel:[0,1]
	v_mov_b32_e32 v56, v103
	v_add_lshl_u32 v68, v4, v63, 3
	v_pk_fma_f32 v[58:59], v[64:65], v[100:101], v[66:67] op_sel:[0,0,1] op_sel_hi:[1,1,0] neg_lo:[0,0,1] neg_hi:[0,0,1]
	v_pk_fma_f32 v[64:65], v[64:65], v[100:101], v[66:67] op_sel:[0,0,1] op_sel_hi:[1,0,0]
	s_waitcnt lgkmcnt(1)
	v_pk_mul_f32 v[66:67], v[120:121], v[56:57] op_sel_hi:[1,0]
	v_add_u32_e32 v63, 0x800, v214
	v_mov_b32_e32 v59, v65
	v_pk_fma_f32 v[64:65], v[120:121], v[102:103], v[66:67] op_sel:[0,0,1] op_sel_hi:[1,1,0] neg_lo:[0,0,1] neg_hi:[0,0,1]
	v_pk_fma_f32 v[66:67], v[120:121], v[102:103], v[66:67] op_sel:[0,0,1] op_sel_hi:[1,0,0]
	ds_read2_b64 v[120:123], v63 offset0:122 offset1:185
	v_pk_mul_f32 v[112:113], v[116:117], v[88:89] op_sel:[0,1]
	v_mov_b32_e32 v65, v67
	v_pk_fma_f32 v[66:67], v[116:117], v[88:89], v[112:113] op_sel:[0,0,1] op_sel_hi:[1,1,0] neg_lo:[0,0,1] neg_hi:[0,0,1]
	v_pk_fma_f32 v[112:113], v[116:117], v[88:89], v[112:113] op_sel:[0,0,1] op_sel_hi:[1,0,0]
	v_mov_b32_e32 v56, v91
	v_mov_b32_e32 v67, v113
	s_waitcnt lgkmcnt(1)
	v_pk_mul_f32 v[112:113], v[128:129], v[56:57] op_sel_hi:[1,0]
	v_add_u32_e32 v27, 0x1c00, v214
	v_pk_fma_f32 v[138:139], v[128:129], v[90:91], v[112:113] op_sel:[0,0,1] op_sel_hi:[1,1,0] neg_lo:[0,0,1] neg_hi:[0,0,1]
	v_pk_fma_f32 v[112:113], v[128:129], v[90:91], v[112:113] op_sel:[0,0,1] op_sel_hi:[1,0,0]
	ds_read2_b64 v[128:131], v27 offset0:112 offset1:175
	s_waitcnt vmcnt(0) lgkmcnt(1)
	v_pk_mul_f32 v[116:117], v[122:123], v[92:93] op_sel:[0,1]
	v_mov_b32_e32 v56, v95
	v_pk_fma_f32 v[140:141], v[122:123], v[92:93], v[116:117] op_sel:[0,0,1] op_sel_hi:[1,1,0] neg_lo:[0,0,1] neg_hi:[0,0,1]
	v_pk_fma_f32 v[116:117], v[122:123], v[92:93], v[116:117] op_sel:[0,0,1] op_sel_hi:[1,0,0]
	v_add_u32_e32 v27, 0x2400, v214
	v_mov_b32_e32 v141, v117
	v_pk_mul_f32 v[116:117], v[118:119], v[56:57] op_sel_hi:[1,0]
	v_mov_b32_e32 v56, v83
	v_pk_fma_f32 v[122:123], v[118:119], v[94:95], v[116:117] op_sel:[0,0,1] op_sel_hi:[1,1,0] neg_lo:[0,0,1] neg_hi:[0,0,1]
	v_pk_fma_f32 v[116:117], v[118:119], v[94:95], v[116:117] op_sel:[0,0,1] op_sel_hi:[1,0,0]
	v_pk_mul_f32 v[146:147], v[120:121], v[76:77] op_sel:[0,1]
	v_mov_b32_e32 v123, v117
	s_waitcnt lgkmcnt(0)
	v_pk_mul_f32 v[116:117], v[130:131], v[80:81] op_sel:[0,1]
	ds_read2_b64 v[134:137], v27 offset0:108 offset1:171
	v_pk_fma_f32 v[142:143], v[130:131], v[80:81], v[116:117] op_sel:[0,0,1] op_sel_hi:[1,1,0] neg_lo:[0,0,1] neg_hi:[0,0,1]
	v_pk_fma_f32 v[116:117], v[130:131], v[80:81], v[116:117] op_sel:[0,0,1] op_sel_hi:[1,0,0]
	ds_read2_b64 v[130:133], v170 offset0:118 offset1:181
	v_mov_b32_e32 v143, v117
	v_pk_mul_f32 v[116:117], v[126:127], v[56:57] op_sel_hi:[1,0]
	v_pk_fma_f32 v[148:149], v[120:121], v[76:77], v[146:147] op_sel:[0,0,1] op_sel_hi:[1,1,0] neg_lo:[0,0,1] neg_hi:[0,0,1]
	v_pk_fma_f32 v[120:121], v[120:121], v[76:77], v[146:147] op_sel:[0,0,1] op_sel_hi:[1,0,0]
	v_mov_b32_e32 v56, v79
	v_mov_b32_e32 v149, v121
	s_waitcnt lgkmcnt(0)
	v_pk_mul_f32 v[120:121], v[132:133], v[56:57] op_sel_hi:[1,0]
	v_mov_b32_e32 v56, v75
	v_pk_fma_f32 v[146:147], v[132:133], v[78:79], v[120:121] op_sel:[0,0,1] op_sel_hi:[1,1,0] neg_lo:[0,0,1] neg_hi:[0,0,1]
	v_pk_fma_f32 v[120:121], v[132:133], v[78:79], v[120:121] op_sel:[0,0,1] op_sel_hi:[1,0,0]
	ds_read2_b64 v[4:7], v214 offset0:126 offset1:189
	v_mov_b32_e32 v147, v121
	v_pk_mul_f32 v[120:121], v[128:129], v[72:73] op_sel:[0,1]
	v_pk_fma_f32 v[144:145], v[126:127], v[82:83], v[116:117] op_sel:[0,0,1] op_sel_hi:[1,1,0] neg_lo:[0,0,1] neg_hi:[0,0,1]
	v_pk_fma_f32 v[132:133], v[128:129], v[72:73], v[120:121] op_sel:[0,0,1] op_sel_hi:[1,1,0] neg_lo:[0,0,1] neg_hi:[0,0,1]
	v_pk_fma_f32 v[120:121], v[128:129], v[72:73], v[120:121] op_sel:[0,0,1] op_sel_hi:[1,0,0]
	v_pk_fma_f32 v[116:117], v[126:127], v[82:83], v[116:117] op_sel:[0,0,1] op_sel_hi:[1,0,0]
	v_mov_b32_e32 v133, v121
	v_pk_mul_f32 v[120:121], v[136:137], v[56:57] op_sel_hi:[1,0]
	v_mov_b32_e32 v145, v117
	v_pk_fma_f32 v[128:129], v[136:137], v[74:75], v[120:121] op_sel:[0,0,1] op_sel_hi:[1,1,0] neg_lo:[0,0,1] neg_hi:[0,0,1]
	v_pk_fma_f32 v[120:121], v[136:137], v[74:75], v[120:121] op_sel:[0,0,1] op_sel_hi:[1,0,0]
	v_pk_mul_f32 v[136:137], v[2:3], v[162:163] op_sel:[0,1]
	s_waitcnt lgkmcnt(0)
	v_pk_add_f32 v[116:117], v[4:5], v[140:141]
	v_pk_fma_f32 v[150:151], v[2:3], v[162:163], v[136:137] op_sel:[0,0,1] op_sel_hi:[1,1,0] neg_lo:[0,0,1] neg_hi:[0,0,1]
	v_pk_fma_f32 v[2:3], v[2:3], v[162:163], v[136:137] op_sel:[0,0,1] op_sel_hi:[1,0,0]
	v_pk_add_f32 v[116:117], v[116:117], v[122:123]
	v_mov_b32_e32 v2, v165
	v_mov_b32_e32 v151, v3
	v_pk_mul_f32 v[2:3], v[130:131], v[2:3] op_sel_hi:[1,0]
	v_pk_add_f32 v[116:117], v[116:117], v[142:143]
	v_pk_fma_f32 v[136:137], v[130:131], v[164:165], v[2:3] op_sel:[0,0,1] op_sel_hi:[1,1,0] neg_lo:[0,0,1] neg_hi:[0,0,1]
	v_pk_fma_f32 v[2:3], v[130:131], v[164:165], v[2:3] op_sel:[0,0,1] op_sel_hi:[1,0,0]
	v_pk_add_f32 v[126:127], v[116:117], v[144:145]
	v_mov_b32_e32 v137, v3
	v_pk_mul_f32 v[2:3], v[114:115], v[154:155] op_sel:[0,1]
	ds_read2_b64 v[116:119], v214 offset1:63
	v_pk_fma_f32 v[130:131], v[114:115], v[154:155], v[2:3] op_sel:[0,0,1] op_sel_hi:[1,1,0] neg_lo:[0,0,1] neg_hi:[0,0,1]
	v_pk_fma_f32 v[2:3], v[114:115], v[154:155], v[2:3] op_sel:[0,0,1] op_sel_hi:[1,0,0]
	v_accvgpr_write_b32 a94, v154
	v_mov_b32_e32 v2, v157
	v_mov_b32_e32 v131, v3
	v_pk_mul_f32 v[2:3], v[134:135], v[2:3] op_sel_hi:[1,0]
	v_accvgpr_write_b32 a102, v162
	v_pk_fma_f32 v[114:115], v[134:135], v[156:157], v[2:3] op_sel:[0,0,1] op_sel_hi:[1,1,0] neg_lo:[0,0,1] neg_hi:[0,0,1]
	v_pk_fma_f32 v[2:3], v[134:135], v[156:157], v[2:3] op_sel:[0,0,1] op_sel_hi:[1,0,0]
	v_accvgpr_write_b32 a95, v155
	v_mov_b32_e32 v115, v3
	v_accvgpr_write_b32 a96, v156
	v_accvgpr_write_b32 a97, v157
	v_pk_add_f32 v[134:135], v[136:137], v[130:131]
	v_pk_add_f32 v[154:155], v[150:151], v[114:115] neg_lo:[0,1] neg_hi:[0,1]
	v_accvgpr_write_b32 a103, v163
	v_accvgpr_write_b32 a104, v164
	;; [unrolled: 1-line block ×3, first 2 shown]
	s_waitcnt lgkmcnt(0)
	v_pk_fma_f32 v[134:135], v[134:135], 0.5, v[116:117] op_sel_hi:[1,0,1] neg_lo:[1,0,0] neg_hi:[1,0,0]
	v_pk_mul_f32 v[156:157], v[154:155], s[16:17] op_sel_hi:[1,0]
	v_pk_add_f32 v[162:163], v[136:137], v[130:131] neg_lo:[0,1] neg_hi:[0,1]
	v_pk_add_f32 v[166:167], v[150:151], v[136:137] neg_lo:[0,1] neg_hi:[0,1]
	;; [unrolled: 1-line block ×3, first 2 shown]
	v_pk_add_f32 v[2:3], v[116:117], v[150:151]
	v_pk_mul_f32 v[164:165], v[162:163], s[18:19] op_sel_hi:[1,0]
	v_pk_add_f32 v[166:167], v[166:167], v[168:169]
	v_pk_add_f32 v[168:169], v[134:135], v[156:157] op_sel:[0,1] op_sel_hi:[1,0]
	v_pk_add_f32 v[134:135], v[134:135], v[156:157] op_sel:[0,1] op_sel_hi:[1,0] neg_lo:[0,1] neg_hi:[0,1]
	v_pk_add_f32 v[2:3], v[2:3], v[136:137]
	v_pk_add_f32 v[134:135], v[134:135], v[164:165] op_sel:[0,1] op_sel_hi:[1,0] neg_lo:[0,1] neg_hi:[0,1]
	v_pk_add_f32 v[156:157], v[168:169], v[164:165] op_sel:[0,1] op_sel_hi:[1,0]
	v_pk_add_f32 v[2:3], v[2:3], v[130:131]
	v_mov_b32_e32 v164, v156
	v_mov_b32_e32 v165, v135
	v_pk_add_f32 v[2:3], v[2:3], v[114:115]
	v_pk_fma_f32 v[164:165], v[166:167], s[4:5], v[164:165] op_sel_hi:[1,0,1]
	s_waitcnt lgkmcnt(0)
	; wave barrier
	ds_write2_b64 v71, v[2:3], v[164:165] offset1:9
	v_pk_add_f32 v[2:3], v[150:151], v[114:115]
	v_pk_add_f32 v[114:115], v[130:131], v[114:115] neg_lo:[0,1] neg_hi:[0,1]
	v_pk_fma_f32 v[2:3], v[2:3], 0.5, v[116:117] op_sel_hi:[1,0,1] neg_lo:[1,0,0] neg_hi:[1,0,0]
	v_pk_add_f32 v[116:117], v[136:137], v[150:151] neg_lo:[0,1] neg_hi:[0,1]
	v_pk_mul_f32 v[130:131], v[154:155], s[18:19] op_sel_hi:[1,0]
	v_pk_add_f32 v[114:115], v[116:117], v[114:115]
	v_pk_mul_f32 v[116:117], v[162:163], s[16:17] op_sel_hi:[1,0]
	v_mov_b32_e32 v135, v157
	v_pk_add_f32 v[136:137], v[2:3], v[116:117] op_sel:[0,1] op_sel_hi:[1,0] neg_lo:[0,1] neg_hi:[0,1]
	v_pk_add_f32 v[2:3], v[2:3], v[116:117] op_sel:[0,1] op_sel_hi:[1,0]
	v_pk_add_f32 v[116:117], v[136:137], v[130:131] op_sel:[0,1] op_sel_hi:[1,0]
	v_pk_add_f32 v[2:3], v[2:3], v[130:131] op_sel:[0,1] op_sel_hi:[1,0] neg_lo:[0,1] neg_hi:[0,1]
	v_mov_b32_e32 v130, v116
	v_mov_b32_e32 v131, v3
	;; [unrolled: 1-line block ×3, first 2 shown]
	v_pk_fma_f32 v[130:131], v[114:115], s[4:5], v[130:131] op_sel_hi:[1,0,1]
	v_pk_fma_f32 v[2:3], v[114:115], s[4:5], v[2:3] op_sel_hi:[1,0,1]
	v_mov_b32_e32 v129, v121
	ds_write2_b64 v71, v[130:131], v[2:3] offset0:18 offset1:27
	v_pk_fma_f32 v[2:3], v[166:167], s[4:5], v[134:135] op_sel_hi:[1,0,1]
	ds_write_b64 v71, v[2:3] offset:288
	v_pk_add_f32 v[2:3], v[146:147], v[132:133]
	v_pk_add_f32 v[114:115], v[148:149], v[128:129] neg_lo:[0,1] neg_hi:[0,1]
	v_pk_fma_f32 v[2:3], v[2:3], 0.5, v[118:119] op_sel_hi:[1,0,1] neg_lo:[1,0,0] neg_hi:[1,0,0]
	v_pk_mul_f32 v[116:117], v[114:115], s[16:17] op_sel_hi:[1,0]
	v_pk_add_f32 v[130:131], v[146:147], v[132:133] neg_lo:[0,1] neg_hi:[0,1]
	v_pk_add_f32 v[136:137], v[148:149], v[146:147] neg_lo:[0,1] neg_hi:[0,1]
	;; [unrolled: 1-line block ×3, first 2 shown]
	v_pk_add_f32 v[120:121], v[118:119], v[148:149]
	v_pk_mul_f32 v[134:135], v[130:131], s[18:19] op_sel_hi:[1,0]
	v_pk_add_f32 v[136:137], v[136:137], v[150:151]
	v_pk_add_f32 v[150:151], v[2:3], v[116:117] op_sel:[0,1] op_sel_hi:[1,0]
	v_pk_add_f32 v[2:3], v[2:3], v[116:117] op_sel:[0,1] op_sel_hi:[1,0] neg_lo:[0,1] neg_hi:[0,1]
	v_pk_add_f32 v[120:121], v[120:121], v[146:147]
	v_pk_add_f32 v[2:3], v[2:3], v[134:135] op_sel:[0,1] op_sel_hi:[1,0] neg_lo:[0,1] neg_hi:[0,1]
	v_pk_add_f32 v[116:117], v[150:151], v[134:135] op_sel:[0,1] op_sel_hi:[1,0]
	v_pk_add_f32 v[120:121], v[120:121], v[132:133]
	v_mov_b32_e32 v134, v116
	v_mov_b32_e32 v135, v3
	v_pk_add_f32 v[120:121], v[120:121], v[128:129]
	v_pk_fma_f32 v[134:135], v[136:137], s[4:5], v[134:135] op_sel_hi:[1,0,1]
	ds_write2_b64 v70, v[120:121], v[134:135] offset1:9
	v_pk_add_f32 v[120:121], v[148:149], v[128:129]
	v_pk_add_f32 v[128:129], v[132:133], v[128:129] neg_lo:[0,1] neg_hi:[0,1]
	v_pk_fma_f32 v[118:119], v[120:121], 0.5, v[118:119] op_sel_hi:[1,0,1] neg_lo:[1,0,0] neg_hi:[1,0,0]
	v_pk_add_f32 v[120:121], v[146:147], v[148:149] neg_lo:[0,1] neg_hi:[0,1]
	v_pk_mul_f32 v[114:115], v[114:115], s[18:19] op_sel_hi:[1,0]
	v_pk_add_f32 v[120:121], v[120:121], v[128:129]
	v_pk_mul_f32 v[128:129], v[130:131], s[16:17] op_sel_hi:[1,0]
	v_mov_b32_e32 v3, v117
	v_pk_add_f32 v[130:131], v[118:119], v[128:129] op_sel:[0,1] op_sel_hi:[1,0] neg_lo:[0,1] neg_hi:[0,1]
	v_pk_add_f32 v[118:119], v[118:119], v[128:129] op_sel:[0,1] op_sel_hi:[1,0]
	v_pk_fma_f32 v[2:3], v[136:137], s[4:5], v[2:3] op_sel_hi:[1,0,1]
	v_pk_add_f32 v[118:119], v[118:119], v[114:115] op_sel:[0,1] op_sel_hi:[1,0] neg_lo:[0,1] neg_hi:[0,1]
	v_pk_add_f32 v[114:115], v[130:131], v[114:115] op_sel:[0,1] op_sel_hi:[1,0]
	v_mov_b32_e32 v129, v119
	v_mov_b32_e32 v128, v114
	;; [unrolled: 1-line block ×3, first 2 shown]
	v_pk_fma_f32 v[128:129], v[120:121], s[4:5], v[128:129] op_sel_hi:[1,0,1]
	v_pk_fma_f32 v[114:115], v[120:121], s[4:5], v[118:119] op_sel_hi:[1,0,1]
	ds_write2_b64 v70, v[128:129], v[114:115] offset0:18 offset1:27
	ds_write_b64 v70, v[2:3] offset:288
	v_pk_add_f32 v[2:3], v[122:123], v[142:143]
	v_pk_add_f32 v[114:115], v[140:141], v[144:145] neg_lo:[0,1] neg_hi:[0,1]
	v_pk_fma_f32 v[2:3], v[2:3], 0.5, v[4:5] op_sel_hi:[1,0,1] neg_lo:[1,0,0] neg_hi:[1,0,0]
	v_pk_mul_f32 v[116:117], v[114:115], s[16:17] op_sel_hi:[1,0]
	v_pk_add_f32 v[118:119], v[122:123], v[142:143] neg_lo:[0,1] neg_hi:[0,1]
	v_pk_add_f32 v[128:129], v[140:141], v[122:123] neg_lo:[0,1] neg_hi:[0,1]
	;; [unrolled: 1-line block ×3, first 2 shown]
	v_pk_mul_f32 v[120:121], v[118:119], s[18:19] op_sel_hi:[1,0]
	v_pk_add_f32 v[128:129], v[128:129], v[130:131]
	v_pk_add_f32 v[130:131], v[2:3], v[116:117] op_sel:[0,1] op_sel_hi:[1,0]
	v_pk_add_f32 v[2:3], v[2:3], v[116:117] op_sel:[0,1] op_sel_hi:[1,0] neg_lo:[0,1] neg_hi:[0,1]
	v_pk_add_f32 v[116:117], v[130:131], v[120:121] op_sel:[0,1] op_sel_hi:[1,0]
	v_pk_add_f32 v[2:3], v[2:3], v[120:121] op_sel:[0,1] op_sel_hi:[1,0] neg_lo:[0,1] neg_hi:[0,1]
	v_mov_b32_e32 v120, v116
	v_mov_b32_e32 v121, v3
	v_pk_fma_f32 v[120:121], v[128:129], s[4:5], v[120:121] op_sel_hi:[1,0,1]
	ds_write2_b64 v69, v[126:127], v[120:121] offset1:9
	v_pk_add_f32 v[120:121], v[140:141], v[144:145]
	v_pk_mul_f32 v[118:119], v[118:119], s[16:17] op_sel_hi:[1,0]
	v_pk_fma_f32 v[4:5], v[120:121], 0.5, v[4:5] op_sel_hi:[1,0,1] neg_lo:[1,0,0] neg_hi:[1,0,0]
	v_pk_add_f32 v[120:121], v[122:123], v[140:141] neg_lo:[0,1] neg_hi:[0,1]
	v_pk_add_f32 v[122:123], v[142:143], v[144:145] neg_lo:[0,1] neg_hi:[0,1]
	v_pk_mul_f32 v[114:115], v[114:115], s[18:19] op_sel_hi:[1,0]
	v_pk_add_f32 v[120:121], v[120:121], v[122:123]
	v_pk_add_f32 v[122:123], v[4:5], v[118:119] op_sel:[0,1] op_sel_hi:[1,0] neg_lo:[0,1] neg_hi:[0,1]
	v_pk_add_f32 v[4:5], v[4:5], v[118:119] op_sel:[0,1] op_sel_hi:[1,0]
	v_mov_b32_e32 v3, v117
	v_pk_add_f32 v[4:5], v[4:5], v[114:115] op_sel:[0,1] op_sel_hi:[1,0] neg_lo:[0,1] neg_hi:[0,1]
	v_pk_add_f32 v[114:115], v[122:123], v[114:115] op_sel:[0,1] op_sel_hi:[1,0]
	v_mov_b32_e32 v119, v5
	v_mov_b32_e32 v118, v114
	v_mov_b32_e32 v5, v115
	v_mov_b32_e32 v139, v113
	v_pk_fma_f32 v[118:119], v[120:121], s[4:5], v[118:119] op_sel_hi:[1,0,1]
	v_pk_fma_f32 v[4:5], v[120:121], s[4:5], v[4:5] op_sel_hi:[1,0,1]
	;; [unrolled: 1-line block ×3, first 2 shown]
	ds_write2_b64 v69, v[118:119], v[4:5] offset0:18 offset1:27
	ds_write_b64 v69, v[2:3] offset:288
	v_pk_add_f32 v[2:3], v[64:65], v[66:67]
	v_pk_add_f32 v[4:5], v[58:59], v[138:139] neg_lo:[0,1] neg_hi:[0,1]
	v_pk_fma_f32 v[2:3], v[2:3], 0.5, v[6:7] op_sel_hi:[1,0,1] neg_lo:[1,0,0] neg_hi:[1,0,0]
	v_pk_mul_f32 v[114:115], v[4:5], s[16:17] op_sel_hi:[1,0]
	v_pk_add_f32 v[116:117], v[64:65], v[66:67] neg_lo:[0,1] neg_hi:[0,1]
	v_pk_add_f32 v[120:121], v[58:59], v[64:65] neg_lo:[0,1] neg_hi:[0,1]
	;; [unrolled: 1-line block ×3, first 2 shown]
	v_pk_add_f32 v[112:113], v[6:7], v[58:59]
	v_pk_mul_f32 v[118:119], v[116:117], s[18:19] op_sel_hi:[1,0]
	v_pk_add_f32 v[120:121], v[120:121], v[122:123]
	v_pk_add_f32 v[122:123], v[2:3], v[114:115] op_sel:[0,1] op_sel_hi:[1,0]
	v_pk_add_f32 v[2:3], v[2:3], v[114:115] op_sel:[0,1] op_sel_hi:[1,0] neg_lo:[0,1] neg_hi:[0,1]
	v_pk_add_f32 v[112:113], v[112:113], v[64:65]
	v_pk_add_f32 v[2:3], v[2:3], v[118:119] op_sel:[0,1] op_sel_hi:[1,0] neg_lo:[0,1] neg_hi:[0,1]
	v_pk_add_f32 v[114:115], v[122:123], v[118:119] op_sel:[0,1] op_sel_hi:[1,0]
	v_pk_add_f32 v[112:113], v[112:113], v[66:67]
	v_mov_b32_e32 v118, v114
	v_mov_b32_e32 v119, v3
	v_pk_add_f32 v[112:113], v[112:113], v[138:139]
	v_pk_fma_f32 v[118:119], v[120:121], s[4:5], v[118:119] op_sel_hi:[1,0,1]
	ds_write2_b64 v68, v[112:113], v[118:119] offset1:9
	v_pk_add_f32 v[112:113], v[58:59], v[138:139]
	v_pk_add_f32 v[58:59], v[64:65], v[58:59] neg_lo:[0,1] neg_hi:[0,1]
	v_pk_add_f32 v[64:65], v[66:67], v[138:139] neg_lo:[0,1] neg_hi:[0,1]
	v_pk_fma_f32 v[6:7], v[112:113], 0.5, v[6:7] op_sel_hi:[1,0,1] neg_lo:[1,0,0] neg_hi:[1,0,0]
	v_pk_add_f32 v[58:59], v[58:59], v[64:65]
	v_pk_mul_f32 v[64:65], v[116:117], s[16:17] op_sel_hi:[1,0]
	v_pk_mul_f32 v[4:5], v[4:5], s[18:19] op_sel_hi:[1,0]
	v_pk_add_f32 v[66:67], v[6:7], v[64:65] op_sel:[0,1] op_sel_hi:[1,0] neg_lo:[0,1] neg_hi:[0,1]
	v_pk_add_f32 v[6:7], v[6:7], v[64:65] op_sel:[0,1] op_sel_hi:[1,0]
	v_mov_b32_e32 v3, v115
	v_pk_add_f32 v[0:1], v[0:1], v[8:9]
	v_pk_add_f32 v[6:7], v[6:7], v[4:5] op_sel:[0,1] op_sel_hi:[1,0] neg_lo:[0,1] neg_hi:[0,1]
	v_pk_add_f32 v[4:5], v[66:67], v[4:5] op_sel:[0,1] op_sel_hi:[1,0]
	v_pk_fma_f32 v[2:3], v[120:121], s[4:5], v[2:3] op_sel_hi:[1,0,1]
	v_pk_add_f32 v[0:1], v[0:1], v[20:21]
	v_mov_b32_e32 v64, v4
	v_mov_b32_e32 v65, v7
	;; [unrolled: 1-line block ×3, first 2 shown]
	ds_write_b64 v68, v[2:3] offset:288
	v_mad_legacy_u16 v2, v36, 45, v37
	v_pk_add_f32 v[0:1], v[0:1], v[10:11]
	v_mov_b32_e32 v27, v57
	v_pk_fma_f32 v[64:65], v[58:59], s[4:5], v[64:65] op_sel_hi:[1,0,1]
	v_pk_fma_f32 v[4:5], v[58:59], s[4:5], v[6:7] op_sel_hi:[1,0,1]
	v_lshlrev_b32_e32 v2, 3, v2
	v_pk_add_f32 v[0:1], v[0:1], v[22:23]
	v_pk_fma_f32 v[150:151], v[24:25], s[4:5], v[26:27] op_sel_hi:[1,0,1]
	ds_write2_b64 v68, v[64:65], v[4:5] offset0:18 offset1:27
	ds_write2_b64 v2, v[0:1], v[150:151] offset1:9
	ds_write2_b64 v2, v[152:153], v[158:159] offset0:18 offset1:27
	ds_write_b64 v2, v[160:161] offset:288
	s_waitcnt lgkmcnt(0)
	; wave barrier
	s_waitcnt lgkmcnt(0)
	ds_read2_b64 v[154:157], v214 offset1:63
	ds_read2_b64 v[166:169], v38 offset0:66 offset1:129
	ds_read2_b64 v[130:133], v170 offset0:64 offset1:163
	;; [unrolled: 1-line block ×9, first 2 shown]
	ds_read_b64 v[184:185], v214 offset:11808
	v_accvgpr_write_b32 a106, v71
	v_accvgpr_write_b32 a85, v70
	;; [unrolled: 1-line block ×5, first 2 shown]
	v_cmp_gt_u16_e64 s[4:5], 36, v186
	s_and_saveexec_b64 s[16:17], vcc
	s_xor_b64 s[16:17], exec, s[16:17]
	s_or_saveexec_b64 s[16:17], s[16:17]
                                        ; implicit-def: $vgpr0
	s_xor_b64 exec, exec, s[16:17]
	s_cbranch_execz .LBB0_13
; %bb.12:
	v_add_u32_e32 v0, 0x500, v214
	ds_read2_b64 v[150:153], v0 offset0:29 offset1:254
	v_add_u32_e32 v0, 0x2200, v214
	ds_read2_b64 v[122:125], v0 offset0:1 offset1:226
	;; [unrolled: 2-line block ×3, first 2 shown]
	ds_read_b64 v[0:1], v214 offset:12312
	s_waitcnt lgkmcnt(2)
	v_mov_b32_e32 v182, v122
	v_mov_b32_e32 v183, v125
	;; [unrolled: 1-line block ×3, first 2 shown]
.LBB0_13:
	s_or_b64 exec, exec, s[16:17]
	s_movk_i32 s18, 0x6d
	v_mul_lo_u16_sdwa v4, v180, s18 dst_sel:DWORD dst_unused:UNUSED_PAD src0_sel:BYTE_0 src1_sel:DWORD
	v_sub_u16_sdwa v5, v180, v4 dst_sel:DWORD dst_unused:UNUSED_PAD src0_sel:DWORD src1_sel:BYTE_1
	v_lshrrev_b16_e32 v5, 1, v5
	v_and_b32_e32 v5, 0x7f, v5
	v_add_u16_sdwa v4, v5, v4 dst_sel:DWORD dst_unused:UNUSED_PAD src0_sel:DWORD src1_sel:BYTE_1
	v_accvgpr_read_b32 v62, a30
	v_lshrrev_b16_e32 v37, 5, v4
	v_subrev_u32_e32 v2, 45, v62
	v_cmp_gt_u16_e32 vcc, 45, v62
	v_mul_lo_u16_e32 v4, 45, v37
	v_sub_u16_e32 v4, v180, v4
	v_cndmask_b32_e32 v36, v2, v62, vcc
	v_mul_hi_i32_i24_e32 v3, 48, v36
	v_mul_i32_i24_e32 v2, 48, v36
	v_and_b32_e32 v38, 0xff, v4
	v_lshl_add_u64 v[2:3], s[0:1], 0, v[2:3]
	v_mad_u64_u32 v[4:5], s[16:17], v38, 48, s[0:1]
	global_load_dwordx4 v[112:115], v[2:3], off offset:352
	global_load_dwordx4 v[236:239], v[2:3], off offset:336
	;; [unrolled: 1-line block ×6, first 2 shown]
	v_mul_lo_u16_sdwa v2, v178, s18 dst_sel:DWORD dst_unused:UNUSED_PAD src0_sel:BYTE_0 src1_sel:DWORD
	v_sub_u16_sdwa v3, v178, v2 dst_sel:DWORD dst_unused:UNUSED_PAD src0_sel:DWORD src1_sel:BYTE_1
	v_lshrrev_b16_e32 v3, 1, v3
	v_and_b32_e32 v3, 0x7f, v3
	v_add_u16_sdwa v2, v3, v2 dst_sel:DWORD dst_unused:UNUSED_PAD src0_sel:DWORD src1_sel:BYTE_1
	v_lshrrev_b16_e32 v3, 5, v2
	v_mul_lo_u16_e32 v2, 45, v3
	v_sub_u16_e32 v2, v178, v2
	v_and_b32_e32 v4, 0xff, v2
	v_mul_lo_u16_sdwa v2, v176, s18 dst_sel:DWORD dst_unused:UNUSED_PAD src0_sel:BYTE_0 src1_sel:DWORD
	v_sub_u16_sdwa v5, v176, v2 dst_sel:DWORD dst_unused:UNUSED_PAD src0_sel:DWORD src1_sel:BYTE_1
	v_lshrrev_b16_e32 v5, 1, v5
	v_and_b32_e32 v5, 0x7f, v5
	v_add_u16_sdwa v2, v5, v2 dst_sel:DWORD dst_unused:UNUSED_PAD src0_sel:DWORD src1_sel:BYTE_1
	v_lshrrev_b16_e32 v2, 5, v2
	v_mul_lo_u16_e32 v2, 45, v2
	v_sub_u16_e32 v2, v176, v2
	v_mad_u64_u32 v[6:7], s[16:17], v4, 48, s[0:1]
	v_accvgpr_write_b32 a31, v2
	v_and_b32_e32 v2, 0xff, v2
	global_load_dwordx4 v[120:123], v[6:7], off offset:352
	global_load_dwordx4 v[68:71], v[6:7], off offset:336
	v_mad_u64_u32 v[8:9], s[16:17], v2, 48, s[0:1]
	global_load_dwordx4 v[220:223], v[6:7], off offset:368
	global_load_dwordx4 v[216:219], v[8:9], off offset:352
	;; [unrolled: 1-line block ×4, first 2 shown]
	s_waitcnt lgkmcnt(1)
	v_mov_b32_e32 v6, v161
	v_mov_b32_e32 v8, v153
	;; [unrolled: 1-line block ×3, first 2 shown]
	s_mov_b32 s24, 0x3f4a47b2
	s_mov_b32 s26, 0x3d64c772
	;; [unrolled: 1-line block ×8, first 2 shown]
	v_cmp_lt_u16_e32 vcc, 44, v62
	s_waitcnt lgkmcnt(0)
	; wave barrier
	s_waitcnt vmcnt(9) lgkmcnt(0)
	v_accvgpr_write_b32 a86, v224
	v_mul_f32_e32 v7, v171, v114
	v_mul_f32_e32 v9, v170, v115
	s_waitcnt vmcnt(7)
	v_mul_f32_e32 v11, v145, v241
	v_fma_f32 v22, v144, v240, -v11
	v_mul_f32_e32 v11, v139, v225
	v_fma_f32 v196, v138, v224, -v11
	v_mul_f32_e32 v5, v167, v239
	v_fma_f32 v20, v166, v238, -v5
	s_waitcnt vmcnt(6)
	v_mul_f32_e32 v5, v169, v235
	v_fma_f32 v198, v168, v234, -v5
	v_mul_f32_e32 v21, v133, v112
	v_mul_f32_e32 v23, v132, v113
	;; [unrolled: 1-line block ×6, first 2 shown]
	v_accvgpr_write_b32 a110, v236
	v_accvgpr_write_b32 a114, v240
	;; [unrolled: 1-line block ×7, first 2 shown]
	s_waitcnt vmcnt(5)
	v_mul_f32_e32 v189, v137, v120
	s_waitcnt vmcnt(3)
	v_mul_f32_e32 v60, v141, v221
	s_waitcnt vmcnt(2)
	v_pk_mul_f32 v[24:25], v[6:7], v[216:217] op_sel:[0,1] op_sel_hi:[1,0]
	s_waitcnt vmcnt(1)
	v_pk_mul_f32 v[56:57], v[152:153], v[204:205]
	v_mov_b32_e32 v6, v205
	v_pk_mul_f32 v[58:59], v[158:159], v[206:207]
	v_mov_b32_e32 v56, v207
	s_waitcnt vmcnt(0)
	v_pk_mul_f32 v[64:65], v[182:183], v[208:209]
	v_mov_b32_e32 v58, v57
	v_pk_mul_f32 v[66:67], v[152:153], v[6:7]
	v_mov_b32_e32 v6, v59
	v_pk_mul_f32 v[56:57], v[158:159], v[56:57]
	v_pk_fma_f32 v[58:59], v[152:153], v[204:205], v[58:59] neg_lo:[0,0,1] neg_hi:[0,0,1]
	v_pk_fma_f32 v[66:67], v[8:9], v[204:205], v[66:67]
	v_pk_fma_f32 v[152:153], v[158:159], v[206:207], v[6:7] neg_lo:[0,0,1] neg_hi:[0,0,1]
	v_mov_b32_e32 v6, v65
	v_mov_b32_e32 v8, v209
	v_pk_fma_f32 v[10:11], v[10:11], v[206:207], v[56:57]
	v_pk_fma_f32 v[56:57], v[124:125], v[208:209], v[6:7] neg_lo:[0,0,1] neg_hi:[0,0,1]
	v_mov_b32_e32 v6, v183
	v_pk_mul_f32 v[64:65], v[124:125], v[8:9]
	v_pk_mul_f32 v[158:159], v[0:1], v[210:211]
	v_pk_fma_f32 v[64:65], v[6:7], v[208:209], v[64:65]
	v_mov_b32_e32 v6, v159
	v_mov_b32_e32 v8, v211
	v_pk_fma_f32 v[158:159], v[0:1], v[210:211], v[6:7] neg_lo:[0,0,1] neg_hi:[0,0,1]
	v_mov_b32_e32 v6, v1
	v_pk_mul_f32 v[0:1], v[0:1], v[8:9]
	v_fma_f32 v186, v140, v220, -v60
	v_accvgpr_write_b32 a58, v208
	v_pk_fma_f32 v[0:1], v[6:7], v[210:211], v[0:1] op_sel_hi:[0,1,1]
	v_mov_b32_e32 v60, v219
	v_mov_b32_e32 v61, v218
	;; [unrolled: 1-line block ×3, first 2 shown]
	v_accvgpr_write_b32 a59, v209
	v_accvgpr_write_b32 a60, v210
	;; [unrolled: 1-line block ×3, first 2 shown]
	v_pk_mul_f32 v[208:209], v[6:7], v[60:61]
	v_pk_mul_f32 v[26:27], v[160:161], v[216:217] op_sel:[0,1] op_sel_hi:[1,0]
	v_accvgpr_write_b32 a54, v204
	v_pk_fma_f32 v[208:209], v[182:183], v[218:219], v[208:209] neg_lo:[0,0,1] neg_hi:[0,0,1]
	v_pk_mul_f32 v[124:125], v[124:125], v[60:61]
	v_pk_mul_f32 v[182:183], v[182:183], v[60:61]
	v_accvgpr_write_b32 a55, v205
	v_accvgpr_write_b32 a56, v206
	;; [unrolled: 1-line block ×3, first 2 shown]
	v_pk_add_f32 v[204:205], v[152:153], v[56:57] neg_lo:[0,1] neg_hi:[0,1]
	v_pk_add_f32 v[206:207], v[10:11], v[64:65] neg_lo:[0,1] neg_hi:[0,1]
	v_mov_b32_e32 v5, v10
	v_mov_b32_e32 v10, v24
	;; [unrolled: 1-line block ×7, first 2 shown]
	v_pk_add_f32 v[194:195], v[66:67], v[0:1]
	v_mov_b32_e32 v67, v58
	v_mov_b32_e32 v1, v158
	v_pk_fma_f32 v[24:25], v[160:161], v[216:217], v[24:25] neg_lo:[0,0,1] neg_hi:[0,0,1]
	v_pk_add_f32 v[10:11], v[4:5], v[10:11]
	v_pk_add_f32 v[26:27], v[152:153], v[56:57]
	;; [unrolled: 1-line block ×3, first 2 shown]
	v_pk_add_f32 v[0:1], v[66:67], v[0:1] neg_lo:[0,1] neg_hi:[0,1]
	v_mov_b32_e32 v25, v11
	v_mov_b32_e32 v209, v194
	v_pk_add_f32 v[58:59], v[26:27], v[56:57]
	v_mov_b32_e32 v66, v57
	v_mov_b32_e32 v67, v208
	;; [unrolled: 1-line block ×5, first 2 shown]
	v_pk_add_f32 v[64:65], v[24:25], v[208:209]
	v_pk_add_f32 v[24:25], v[66:67], v[124:125] neg_lo:[0,1] neg_hi:[0,1]
	v_mov_b32_e32 v66, v26
	v_mov_b32_e32 v67, v11
	;; [unrolled: 1-line block ×4, first 2 shown]
	v_pk_add_f32 v[152:153], v[4:5], v[58:59] neg_lo:[0,1] neg_hi:[0,1]
	v_mov_b32_e32 v5, v204
	v_pk_add_f32 v[66:67], v[66:67], v[124:125] neg_lo:[0,1] neg_hi:[0,1]
	v_pk_add_f32 v[56:57], v[56:57], v[64:65] neg_lo:[0,1] neg_hi:[0,1]
	;; [unrolled: 1-line block ×4, first 2 shown]
	v_mov_b32_e32 v124, v206
	v_mov_b32_e32 v125, v204
	v_pk_add_f32 v[182:183], v[4:5], v[0:1] neg_lo:[0,1] neg_hi:[0,1]
	v_pk_add_f32 v[194:195], v[206:207], v[0:1] neg_lo:[0,1] neg_hi:[0,1]
	v_pk_add_f32 v[124:125], v[24:25], v[124:125]
	v_pk_add_f32 v[158:159], v[24:25], v[4:5] neg_lo:[0,1] neg_hi:[0,1]
	v_pk_add_f32 v[160:161], v[24:25], v[206:207] neg_lo:[0,1] neg_hi:[0,1]
	v_pk_add_f32 v[24:25], v[0:1], v[24:25] neg_lo:[0,1] neg_hi:[0,1]
	v_pk_add_f32 v[58:59], v[64:65], v[58:59]
	v_mov_b32_e32 v57, v153
	v_mov_b32_e32 v27, v11
	;; [unrolled: 1-line block ×3, first 2 shown]
	v_pk_add_f32 v[0:1], v[124:125], v[0:1]
	v_pk_add_f32 v[124:125], v[150:151], v[58:59]
	v_pk_mul_f32 v[56:57], v[56:57], s[24:25] op_sel_hi:[1,0]
	v_pk_mul_f32 v[10:11], v[26:27], s[26:27] op_sel_hi:[1,0]
	;; [unrolled: 1-line block ×3, first 2 shown]
	v_mov_b32_e32 v161, v159
	v_pk_mul_f32 v[150:151], v[194:195], s[20:21] op_sel_hi:[1,0]
	v_pk_fma_f32 v[58:59], v[58:59], s[22:23], v[124:125] op_sel_hi:[1,0,1] neg_lo:[1,0,0] neg_hi:[1,0,0]
	v_pk_fma_f32 v[10:11], v[66:67], s[18:19], v[10:11] op_sel_hi:[1,0,1] neg_lo:[0,0,1] neg_hi:[0,0,1]
	;; [unrolled: 1-line block ×4, first 2 shown]
	v_pk_fma_f32 v[26:27], v[26:27], s[26:27], v[56:57] op_sel_hi:[1,0,1]
	v_pk_fma_f32 v[56:57], v[160:161], s[30:31], v[64:65] op_sel_hi:[1,0,1]
	v_pk_add_f32 v[10:11], v[10:11], v[58:59]
	v_pk_add_f32 v[66:67], v[66:67], v[58:59]
	;; [unrolled: 1-line block ×3, first 2 shown]
	v_pk_fma_f32 v[56:57], v[0:1], s[16:17], v[56:57] op_sel_hi:[1,0,1]
	v_pk_fma_f32 v[58:59], v[0:1], s[16:17], v[152:153] op_sel_hi:[1,0,1]
	v_pk_fma_f32 v[24:25], v[24:25], s[28:29], v[150:151] op_sel_hi:[1,0,1] neg_lo:[1,0,1] neg_hi:[1,0,1]
	v_pk_add_f32 v[150:151], v[10:11], v[58:59] neg_lo:[0,1] neg_hi:[0,1]
	v_pk_add_f32 v[152:153], v[10:11], v[58:59]
	v_pk_add_f32 v[182:183], v[26:27], v[56:57]
	v_pk_add_f32 v[194:195], v[26:27], v[56:57] neg_lo:[0,1] neg_hi:[0,1]
	v_mov_b32_e32 v26, v167
	v_mov_b32_e32 v167, v171
	v_mov_b32_e32 v58, v239
	v_mov_b32_e32 v59, v115
	v_pk_fma_f32 v[0:1], v[0:1], s[16:17], v[24:25] op_sel_hi:[1,0,1]
	v_mov_b32_e32 v27, v170
	v_mov_b32_e32 v56, v238
	;; [unrolled: 1-line block ×3, first 2 shown]
	v_pk_mul_f32 v[58:59], v[166:167], v[58:59]
	v_pk_add_f32 v[158:159], v[66:67], v[0:1]
	v_pk_add_f32 v[160:161], v[66:67], v[0:1] neg_lo:[0,1] neg_hi:[0,1]
	v_pk_fma_f32 v[64:65], v[26:27], v[238:239], v[58:59]
	v_pk_fma_f32 v[26:27], v[26:27], v[56:57], v[58:59] neg_lo:[0,0,1] neg_hi:[0,0,1]
	v_mov_b32_e32 v56, v145
	v_mov_b32_e32 v145, v133
	;; [unrolled: 1-line block ×5, first 2 shown]
	v_pk_mul_f32 v[10:11], v[128:129], v[236:237] op_sel_hi:[1,0]
	v_mov_b32_e32 v57, v132
	v_mov_b32_e32 v58, v240
	;; [unrolled: 1-line block ×3, first 2 shown]
	v_pk_mul_f32 v[66:67], v[144:145], v[66:67]
	v_mov_b32_e32 v0, v194
	v_accvgpr_write_b32 a109, v1
	v_pk_fma_f32 v[24:25], v[128:129], v[236:237], v[10:11] op_sel:[0,1,1] op_sel_hi:[1,1,0]
	v_pk_fma_f32 v[10:11], v[128:129], v[236:237], v[10:11] op_sel:[0,1,1] op_sel_hi:[1,1,0] neg_lo:[1,0,0] neg_hi:[1,0,0]
	v_pk_fma_f32 v[128:129], v[56:57], v[240:241], v[66:67]
	v_pk_fma_f32 v[56:57], v[56:57], v[58:59], v[66:67] neg_lo:[0,0,1] neg_hi:[0,0,1]
	v_pk_mul_f32 v[58:59], v[162:163], v[242:243] op_sel_hi:[1,0]
	v_mov_b32_e32 v6, v243
	v_accvgpr_write_b32 a108, v0
	v_mov_b32_e32 v0, 0x13b
	v_pk_fma_f32 v[66:67], v[162:163], v[6:7], v[58:59] op_sel:[0,0,1] op_sel_hi:[1,0,0]
	v_pk_fma_f32 v[58:59], v[162:163], v[6:7], v[58:59] op_sel:[0,0,1] op_sel_hi:[1,0,0] neg_lo:[1,0,0] neg_hi:[1,0,0]
	v_cndmask_b32_e32 v0, 0, v0, vcc
	v_mov_b32_e32 v25, v11
	v_mov_b32_e32 v65, v27
	;; [unrolled: 1-line block ×6, first 2 shown]
	v_add_lshl_u32 v5, v36, v0, 3
	v_pk_add_f32 v[0:1], v[20:21], v[22:23]
	v_pk_add_f32 v[132:133], v[24:25], v[66:67]
	v_pk_add_f32 v[24:25], v[24:25], v[66:67] neg_lo:[0,1] neg_hi:[0,1]
	v_pk_add_f32 v[66:67], v[64:65], v[128:129]
	v_pk_add_f32 v[6:7], v[6:7], v[8:9]
	v_mov_b32_e32 v9, v20
	v_mov_b32_e32 v8, v7
	;; [unrolled: 1-line block ×8, first 2 shown]
	v_pk_add_f32 v[64:65], v[64:65], v[128:129] neg_lo:[0,1] neg_hi:[0,1]
	v_pk_add_f32 v[8:9], v[8:9], v[10:11] neg_lo:[0,1] neg_hi:[0,1]
	v_pk_add_f32 v[128:129], v[0:1], v[6:7]
	v_pk_add_f32 v[26:27], v[56:57], v[26:27]
	v_mov_b32_e32 v22, v8
	v_mov_b32_e32 v23, v25
	;; [unrolled: 1-line block ×7, first 2 shown]
	v_pk_add_f32 v[22:23], v[22:23], v[64:65] neg_lo:[0,1] neg_hi:[0,1]
	s_mov_b32 s31, s28
	v_pk_add_f32 v[56:57], v[56:57], v[0:1] neg_lo:[0,1] neg_hi:[0,1]
	v_mov_b32_e32 v7, v129
	v_mov_b32_e32 v144, v26
	;; [unrolled: 1-line block ×3, first 2 shown]
	v_pk_add_f32 v[26:27], v[128:129], v[26:27]
	s_mov_b32 s27, s24
	v_pk_add_f32 v[10:11], v[10:11], v[8:9] neg_lo:[0,1] neg_hi:[0,1]
	s_mov_b32 s29, s30
	v_pk_mul_f32 v[22:23], v[22:23], s[30:31]
	v_pk_add_f32 v[58:59], v[64:65], v[8:9]
	v_pk_add_f32 v[144:145], v[6:7], v[144:145] neg_lo:[0,1] neg_hi:[0,1]
	v_pk_add_f32 v[128:129], v[154:155], v[26:27]
	v_pk_mul_f32 v[56:57], v[56:57], s[26:27]
	s_mov_b32 s25, s26
	v_pk_mul_f32 v[20:21], v[10:11], s[28:29]
	v_pk_add_f32 v[58:59], v[58:59], v[24:25]
	v_pk_mul_f32 v[154:155], v[144:145], s[24:25]
	v_pk_fma_f32 v[26:27], v[26:27], s[22:23], v[128:129] op_sel_hi:[1,0,1] neg_lo:[1,0,0] neg_hi:[1,0,0]
	v_pk_fma_f32 v[144:145], v[144:145], s[24:25], v[56:57]
	v_pk_fma_f32 v[10:11], v[10:11], s[28:29], v[22:23]
	v_mov_b32_e32 v65, v9
	v_mov_b32_e32 v1, v66
	;; [unrolled: 1-line block ×3, first 2 shown]
	v_pk_add_f32 v[144:145], v[144:145], v[26:27]
	v_pk_fma_f32 v[10:11], v[58:59], s[16:17], v[10:11] op_sel_hi:[1,0,1]
	v_pk_add_f32 v[8:9], v[64:65], v[24:25] neg_lo:[0,1] neg_hi:[0,1]
	v_pk_add_f32 v[0:1], v[0:1], v[6:7] neg_lo:[0,1] neg_hi:[0,1]
	v_mov_b32_e32 v6, v154
	v_mov_b32_e32 v7, v57
	;; [unrolled: 1-line block ×6, first 2 shown]
	v_pk_add_f32 v[162:163], v[144:145], v[10:11]
	v_pk_add_f32 v[10:11], v[144:145], v[10:11] neg_lo:[0,1] neg_hi:[0,1]
	v_pk_fma_f32 v[6:7], v[0:1], s[18:19], v[6:7] op_sel_hi:[1,0,1] neg_lo:[1,0,1] neg_hi:[1,0,1]
	v_pk_fma_f32 v[24:25], v[8:9], s[20:21], v[24:25] op_sel_hi:[1,0,1] neg_lo:[1,0,1] neg_hi:[1,0,1]
	;; [unrolled: 1-line block ×4, first 2 shown]
	v_mov_b32_e32 v145, v11
	v_pk_add_f32 v[6:7], v[6:7], v[26:27]
	v_pk_fma_f32 v[24:25], v[58:59], s[16:17], v[24:25] op_sel_hi:[1,0,1]
	v_pk_add_f32 v[0:1], v[0:1], v[26:27]
	v_pk_fma_f32 v[8:9], v[58:59], s[16:17], v[8:9] op_sel_hi:[1,0,1]
	v_mov_b32_e32 v11, v163
	v_pk_add_f32 v[64:65], v[6:7], v[24:25]
	v_pk_add_f32 v[6:7], v[6:7], v[24:25] neg_lo:[0,1] neg_hi:[0,1]
	v_pk_add_f32 v[20:21], v[0:1], v[8:9] neg_lo:[0,1] neg_hi:[0,1]
	v_pk_add_f32 v[0:1], v[0:1], v[8:9]
	ds_write_b64 v5, v[10:11] offset:2160
	v_mov_b32_e32 v10, v169
	v_mov_b32_e32 v169, v173
	;; [unrolled: 1-line block ×13, first 2 shown]
	v_pk_mul_f32 v[22:23], v[168:169], v[22:23]
	ds_write2_b64 v5, v[24:25], v[8:9] offset0:90 offset1:135
	ds_write2_b64 v5, v[0:1], v[6:7] offset0:180 offset1:225
	v_pk_mul_f32 v[6:7], v[146:147], v[232:233] op_sel_hi:[1,0]
	v_pk_fma_f32 v[24:25], v[10:11], v[234:235], v[22:23]
	v_pk_fma_f32 v[10:11], v[10:11], v[20:21], v[22:23] neg_lo:[0,0,1] neg_hi:[0,0,1]
	v_mov_b32_e32 v20, v139
	v_mov_b32_e32 v139, v135
	;; [unrolled: 1-line block ×4, first 2 shown]
	v_pk_fma_f32 v[8:9], v[146:147], v[232:233], v[6:7] op_sel:[0,1,1] op_sel_hi:[1,1,0]
	v_pk_fma_f32 v[6:7], v[146:147], v[232:233], v[6:7] op_sel:[0,1,1] op_sel_hi:[1,1,0] neg_lo:[1,0,0] neg_hi:[1,0,0]
	v_mov_b32_e32 v21, v134
	v_mov_b32_e32 v22, v224
	;; [unrolled: 1-line block ×3, first 2 shown]
	v_pk_mul_f32 v[26:27], v[138:139], v[26:27]
	v_mov_b32_e32 v6, v227
	v_pk_fma_f32 v[56:57], v[20:21], v[224:225], v[26:27]
	v_pk_fma_f32 v[20:21], v[20:21], v[22:23], v[26:27] neg_lo:[0,0,1] neg_hi:[0,0,1]
	v_pk_mul_f32 v[22:23], v[164:165], v[226:227] op_sel_hi:[1,0]
	v_mov_b32_e32 v144, v162
	v_pk_fma_f32 v[26:27], v[164:165], v[6:7], v[22:23] op_sel:[0,0,1] op_sel_hi:[1,0,0]
	v_pk_fma_f32 v[22:23], v[164:165], v[6:7], v[22:23] op_sel:[0,0,1] op_sel_hi:[1,0,0] neg_lo:[1,0,0] neg_hi:[1,0,0]
	v_mul_u32_u24_e32 v0, 0x13b, v37
	v_mov_b32_e32 v9, v7
	v_mov_b32_e32 v25, v11
	;; [unrolled: 1-line block ×6, first 2 shown]
	ds_write2_b64 v5, v[128:129], v[144:145] offset1:45
	v_accvgpr_write_b32 a119, v5
	v_add_lshl_u32 v5, v0, v38, 3
	v_pk_add_f32 v[0:1], v[198:199], v[196:197]
	v_pk_add_f32 v[58:59], v[8:9], v[26:27]
	v_pk_add_f32 v[8:9], v[8:9], v[26:27] neg_lo:[0,1] neg_hi:[0,1]
	v_pk_add_f32 v[26:27], v[24:25], v[56:57]
	v_pk_add_f32 v[6:7], v[200:201], v[202:203]
	v_pk_add_f32 v[24:25], v[24:25], v[56:57] neg_lo:[0,1] neg_hi:[0,1]
	v_mov_b32_e32 v22, v7
	v_mov_b32_e32 v23, v198
	;; [unrolled: 1-line block ×8, first 2 shown]
	v_pk_add_f32 v[22:23], v[22:23], v[56:57] neg_lo:[0,1] neg_hi:[0,1]
	v_pk_add_f32 v[132:133], v[0:1], v[6:7]
	v_pk_add_f32 v[10:11], v[20:21], v[10:11]
	v_mov_b32_e32 v56, v8
	v_mov_b32_e32 v57, v25
	v_mov_b32_e32 v66, v22
	v_mov_b32_e32 v67, v9
	v_mov_b32_e32 v20, v10
	v_mov_b32_e32 v21, v58
	v_mov_b32_e32 v1, v133
	v_mov_b32_e32 v7, v133
	v_mov_b32_e32 v134, v10
	v_mov_b32_e32 v135, v26
	v_pk_add_f32 v[56:57], v[56:57], v[22:23] neg_lo:[0,1] neg_hi:[0,1]
	v_pk_add_f32 v[66:67], v[66:67], v[24:25] neg_lo:[0,1] neg_hi:[0,1]
	;; [unrolled: 1-line block ×4, first 2 shown]
	v_pk_mul_f32 v[64:65], v[56:57], s[28:29]
	v_pk_mul_f32 v[66:67], v[66:67], s[30:31]
	v_pk_add_f32 v[128:129], v[24:25], v[22:23]
	v_pk_add_f32 v[10:11], v[132:133], v[10:11]
	v_pk_mul_f32 v[20:21], v[20:21], s[26:27]
	v_pk_mul_f32 v[138:139], v[134:135], s[24:25]
	v_mov_b32_e32 v25, v23
	v_mov_b32_e32 v1, v26
	v_mov_b32_e32 v7, v58
	v_pk_add_f32 v[128:129], v[128:129], v[8:9]
	v_pk_add_f32 v[132:133], v[156:157], v[10:11]
	v_pk_fma_f32 v[134:135], v[134:135], s[24:25], v[20:21]
	v_pk_fma_f32 v[56:57], v[56:57], s[28:29], v[66:67]
	v_pk_add_f32 v[8:9], v[24:25], v[8:9] neg_lo:[0,1] neg_hi:[0,1]
	v_pk_add_f32 v[0:1], v[0:1], v[6:7] neg_lo:[0,1] neg_hi:[0,1]
	v_mov_b32_e32 v6, v138
	v_mov_b32_e32 v7, v21
	;; [unrolled: 1-line block ×6, first 2 shown]
	v_pk_fma_f32 v[10:11], v[10:11], s[22:23], v[132:133] op_sel_hi:[1,0,1] neg_lo:[1,0,0] neg_hi:[1,0,0]
	v_pk_fma_f32 v[6:7], v[0:1], s[18:19], v[6:7] op_sel_hi:[1,0,1] neg_lo:[1,0,1] neg_hi:[1,0,1]
	;; [unrolled: 1-line block ×5, first 2 shown]
	v_pk_add_f32 v[6:7], v[6:7], v[10:11]
	v_pk_fma_f32 v[22:23], v[128:129], s[16:17], v[22:23] op_sel_hi:[1,0,1]
	v_pk_add_f32 v[0:1], v[0:1], v[10:11]
	v_pk_fma_f32 v[8:9], v[128:129], s[16:17], v[8:9] op_sel_hi:[1,0,1]
	v_pk_add_f32 v[134:135], v[134:135], v[10:11]
	v_pk_add_f32 v[24:25], v[6:7], v[22:23]
	v_pk_add_f32 v[6:7], v[6:7], v[22:23] neg_lo:[0,1] neg_hi:[0,1]
	v_pk_add_f32 v[10:11], v[0:1], v[8:9] neg_lo:[0,1] neg_hi:[0,1]
	v_pk_add_f32 v[0:1], v[0:1], v[8:9]
	v_pk_fma_f32 v[56:57], v[128:129], s[16:17], v[56:57] op_sel_hi:[1,0,1]
	v_mov_b32_e32 v22, v24
	v_mov_b32_e32 v23, v7
	;; [unrolled: 1-line block ×4, first 2 shown]
	v_mul_f32_e32 v39, v131, v71
	v_pk_add_f32 v[144:145], v[134:135], v[56:57]
	v_pk_add_f32 v[56:57], v[134:135], v[56:57] neg_lo:[0,1] neg_hi:[0,1]
	ds_write2_b64 v5, v[22:23], v[8:9] offset0:90 offset1:135
	v_mov_b32_e32 v1, v11
	v_mov_b32_e32 v7, v25
	;; [unrolled: 1-line block ×8, first 2 shown]
	ds_write2_b64 v5, v[0:1], v[6:7] offset0:180 offset1:225
	v_mov_b32_e32 v57, v145
	v_mul_u32_u24_e32 v0, 0x13b, v3
	v_mov_b32_e32 v9, v142
	v_mov_b32_e32 v10, v70
	;; [unrolled: 1-line block ×3, first 2 shown]
	v_pk_mul_f32 v[20:21], v[130:131], v[20:21]
	ds_write2_b64 v5, v[132:133], v[134:135] offset1:45
	v_accvgpr_write_b32 a120, v5
	ds_write_b64 v5, v[56:57] offset:2160
	v_add_lshl_u32 v215, v0, v4, 3
	v_pk_mul_f32 v[4:5], v[148:149], v[68:69] op_sel_hi:[1,0]
	v_pk_fma_f32 v[22:23], v[8:9], v[70:71], v[20:21]
	v_pk_fma_f32 v[8:9], v[8:9], v[10:11], v[20:21] neg_lo:[0,0,1] neg_hi:[0,0,1]
	v_mov_b32_e32 v10, v141
	v_mov_b32_e32 v141, v137
	;; [unrolled: 1-line block ×4, first 2 shown]
	v_pk_fma_f32 v[6:7], v[148:149], v[68:69], v[4:5] op_sel:[0,1,1] op_sel_hi:[1,1,0]
	v_pk_fma_f32 v[4:5], v[148:149], v[68:69], v[4:5] op_sel:[0,1,1] op_sel_hi:[1,1,0] neg_lo:[1,0,0] neg_hi:[1,0,0]
	v_mov_b32_e32 v11, v136
	v_mov_b32_e32 v20, v220
	;; [unrolled: 1-line block ×3, first 2 shown]
	v_pk_mul_f32 v[24:25], v[140:141], v[24:25]
	v_mov_b32_e32 v4, v223
	v_pk_fma_f32 v[26:27], v[10:11], v[220:221], v[24:25]
	v_pk_fma_f32 v[10:11], v[10:11], v[20:21], v[24:25] neg_lo:[0,0,1] neg_hi:[0,0,1]
	v_pk_mul_f32 v[20:21], v[184:185], v[222:223] op_sel_hi:[1,0]
	v_mul_f32_e32 v187, v136, v121
	v_pk_fma_f32 v[24:25], v[184:185], v[4:5], v[20:21] op_sel:[0,0,1] op_sel_hi:[1,0,0]
	v_pk_fma_f32 v[20:21], v[184:185], v[4:5], v[20:21] op_sel:[0,0,1] op_sel_hi:[1,0,0] neg_lo:[1,0,0] neg_hi:[1,0,0]
	v_mul_f32_e32 v191, v143, v122
	v_mul_f32_e32 v193, v142, v123
	v_fma_f32 v188, v130, v70, -v39
	v_mov_b32_e32 v7, v5
	v_mov_b32_e32 v23, v9
	;; [unrolled: 1-line block ×6, first 2 shown]
	v_pk_add_f32 v[0:1], v[188:189], v[186:187]
	v_pk_add_f32 v[56:57], v[6:7], v[24:25]
	v_pk_add_f32 v[6:7], v[6:7], v[24:25] neg_lo:[0,1] neg_hi:[0,1]
	v_pk_add_f32 v[24:25], v[22:23], v[26:27]
	v_pk_add_f32 v[4:5], v[190:191], v[192:193]
	v_pk_add_f32 v[22:23], v[22:23], v[26:27] neg_lo:[0,1] neg_hi:[0,1]
	v_mov_b32_e32 v20, v5
	v_mov_b32_e32 v21, v188
	;; [unrolled: 1-line block ×8, first 2 shown]
	v_pk_add_f32 v[20:21], v[20:21], v[26:27] neg_lo:[0,1] neg_hi:[0,1]
	v_pk_add_f32 v[128:129], v[0:1], v[4:5]
	v_pk_add_f32 v[8:9], v[10:11], v[8:9]
	v_mov_b32_e32 v26, v6
	v_mov_b32_e32 v27, v23
	;; [unrolled: 1-line block ×10, first 2 shown]
	v_pk_add_f32 v[26:27], v[26:27], v[20:21] neg_lo:[0,1] neg_hi:[0,1]
	v_pk_add_f32 v[64:65], v[64:65], v[22:23] neg_lo:[0,1] neg_hi:[0,1]
	;; [unrolled: 1-line block ×4, first 2 shown]
	v_pk_mul_f32 v[58:59], v[26:27], s[28:29]
	v_pk_mul_f32 v[64:65], v[64:65], s[30:31]
	v_pk_add_f32 v[66:67], v[22:23], v[20:21]
	v_pk_add_f32 v[8:9], v[128:129], v[8:9]
	v_pk_mul_f32 v[10:11], v[10:11], s[26:27]
	v_pk_mul_f32 v[128:129], v[130:131], s[24:25]
	v_mov_b32_e32 v23, v21
	v_mov_b32_e32 v1, v24
	;; [unrolled: 1-line block ×3, first 2 shown]
	v_pk_add_f32 v[66:67], v[66:67], v[6:7]
	v_pk_add_f32 v[126:127], v[126:127], v[8:9]
	v_pk_fma_f32 v[130:131], v[130:131], s[24:25], v[10:11]
	v_pk_fma_f32 v[26:27], v[26:27], s[28:29], v[64:65]
	v_pk_add_f32 v[6:7], v[22:23], v[6:7] neg_lo:[0,1] neg_hi:[0,1]
	v_pk_add_f32 v[0:1], v[0:1], v[4:5] neg_lo:[0,1] neg_hi:[0,1]
	v_mov_b32_e32 v4, v128
	v_mov_b32_e32 v5, v11
	;; [unrolled: 1-line block ×6, first 2 shown]
	v_pk_fma_f32 v[8:9], v[8:9], s[22:23], v[126:127] op_sel_hi:[1,0,1] neg_lo:[1,0,0] neg_hi:[1,0,0]
	v_pk_fma_f32 v[4:5], v[0:1], s[18:19], v[4:5] op_sel_hi:[1,0,1] neg_lo:[1,0,1] neg_hi:[1,0,1]
	;; [unrolled: 1-line block ×5, first 2 shown]
	v_pk_add_f32 v[130:131], v[130:131], v[8:9]
	v_pk_fma_f32 v[26:27], v[66:67], s[16:17], v[26:27] op_sel_hi:[1,0,1]
	v_pk_add_f32 v[4:5], v[4:5], v[8:9]
	v_pk_fma_f32 v[20:21], v[66:67], s[16:17], v[20:21] op_sel_hi:[1,0,1]
	;; [unrolled: 2-line block ×3, first 2 shown]
	v_accvgpr_write_b32 a67, v61
	v_accvgpr_write_b32 a62, v216
	;; [unrolled: 1-line block ×4, first 2 shown]
	v_pk_add_f32 v[132:133], v[130:131], v[26:27]
	v_pk_add_f32 v[26:27], v[130:131], v[26:27] neg_lo:[0,1] neg_hi:[0,1]
	v_pk_add_f32 v[22:23], v[4:5], v[20:21]
	v_pk_add_f32 v[4:5], v[4:5], v[20:21] neg_lo:[0,1] neg_hi:[0,1]
	v_pk_add_f32 v[8:9], v[0:1], v[6:7] neg_lo:[0,1] neg_hi:[0,1]
	v_pk_add_f32 v[0:1], v[0:1], v[6:7]
	v_accvgpr_write_b32 a66, v60
	v_accvgpr_write_b32 a63, v217
	;; [unrolled: 1-line block ×4, first 2 shown]
	v_mov_b32_e32 v228, v152
	v_mov_b32_e32 v229, v151
	;; [unrolled: 1-line block ×4, first 2 shown]
	v_accvgpr_write_b32 a116, v242
	v_accvgpr_write_b32 a117, v243
	;; [unrolled: 1-line block ×14, first 2 shown]
	v_mov_b32_e32 v130, v132
	v_mov_b32_e32 v131, v27
	;; [unrolled: 1-line block ×9, first 2 shown]
	ds_write2_b64 v215, v[126:127], v[130:131] offset1:45
	ds_write2_b64 v215, v[20:21], v[6:7] offset0:90 offset1:135
	ds_write2_b64 v215, v[0:1], v[4:5] offset0:180 offset1:225
	ds_write_b64 v215, v[26:27] offset:2160
	s_and_saveexec_b64 s[16:17], s[4:5]
	s_cbranch_execz .LBB0_15
; %bb.14:
	v_lshlrev_b32_e32 v0, 3, v2
	v_mov_b32_e32 v183, v195
	v_add_u32_e32 v1, 0x2400, v0
	ds_write2_b64 v1, v[124:125], v[182:183] offset0:108 offset1:153
	v_mov_b32_e32 v159, v161
	v_mov_b32_e32 v151, v153
	v_add_u32_e32 v1, 0x2800, v0
	ds_write2_b64 v1, v[158:159], v[150:151] offset0:70 offset1:115
	ds_write2_b64 v1, v[228:229], v[230:231] offset0:160 offset1:205
	ds_write_b64 v0, a[108:109] offset:12240
.LBB0_15:
	s_or_b64 exec, exec, s[16:17]
	v_accvgpr_read_b32 v2, a30
	v_lshlrev_b32_e32 v0, 3, v2
	v_mov_b32_e32 v1, 0
	v_lshl_add_u64 v[184:185], s[14:15], 0, v[0:1]
	v_lshlrev_b32_e32 v0, 5, v2
	s_waitcnt lgkmcnt(0)
	; wave barrier
	s_waitcnt lgkmcnt(0)
	global_load_dwordx4 v[156:159], v0, s[0:1] offset:2512
	global_load_dwordx4 v[160:163], v0, s[0:1] offset:2496
	v_lshlrev_b32_e32 v0, 5, v180
	global_load_dwordx4 v[144:147], v0, s[0:1] offset:2512
	global_load_dwordx4 v[152:155], v0, s[0:1] offset:2496
	v_lshlrev_b32_e32 v0, 5, v178
	;; [unrolled: 3-line block ×4, first 2 shown]
	global_load_dwordx4 v[136:139], v0, s[0:1] offset:2512
	global_load_dwordx4 v[148:151], v0, s[0:1] offset:2496
	v_add_u32_e32 v8, 0xc00, v214
	ds_read2_b64 v[172:175], v8 offset0:120 offset1:183
	v_add_u32_e32 v3, 0x1800, v214
	ds_read2_b64 v[176:179], v3 offset0:114 offset1:177
	v_add_u32_e32 v2, 0x400, v214
	v_add_u32_e32 v4, 0x2000, v214
	ds_read2_b64 v[164:167], v2 offset0:124 offset1:187
	ds_read2_b64 v[168:171], v4 offset0:110 offset1:173
	ds_read_b64 v[0:1], v214 offset:12096
	s_mov_b32 s0, 0x3f737871
	s_mov_b32 s16, 0x3f167918
	;; [unrolled: 1-line block ×3, first 2 shown]
	v_add_u32_e32 v5, 0x1000, v214
	ds_read2_b64 v[180:183], v5 offset0:118 offset1:181
	v_add_u32_e32 v9, 0x1c00, v214
	ds_read2_b64 v[56:59], v9 offset0:112 offset1:175
	s_waitcnt vmcnt(1) lgkmcnt(3)
	v_pk_mul_f32 v[10:11], v[170:171], v[136:137] op_sel:[0,1]
	s_waitcnt vmcnt(0)
	v_pk_mul_f32 v[6:7], v[174:175], v[148:149] op_sel:[0,1]
	v_pk_fma_f32 v[190:191], v[170:171], v[136:137], v[10:11] op_sel:[0,0,1] op_sel_hi:[1,1,0] neg_lo:[0,0,1] neg_hi:[0,0,1]
	v_pk_fma_f32 v[186:187], v[174:175], v[148:149], v[6:7] op_sel:[0,0,1] op_sel_hi:[1,1,0] neg_lo:[0,0,1] neg_hi:[0,0,1]
	v_pk_fma_f32 v[6:7], v[174:175], v[148:149], v[6:7] op_sel:[0,0,1] op_sel_hi:[1,0,0]
	v_pk_fma_f32 v[10:11], v[170:171], v[136:137], v[10:11] op_sel:[0,0,1] op_sel_hi:[1,0,0]
	v_mov_b32_e32 v6, v151
	v_mov_b32_e32 v187, v7
	v_pk_mul_f32 v[6:7], v[176:177], v[6:7] op_sel_hi:[1,0]
	v_mov_b32_e32 v191, v11
	v_pk_fma_f32 v[188:189], v[176:177], v[150:151], v[6:7] op_sel:[0,0,1] op_sel_hi:[1,1,0] neg_lo:[0,0,1] neg_hi:[0,0,1]
	v_pk_fma_f32 v[6:7], v[176:177], v[150:151], v[6:7] op_sel:[0,0,1] op_sel_hi:[1,0,0]
	v_mov_b32_e32 v10, v11
	v_mov_b32_e32 v6, v139
	s_waitcnt lgkmcnt(2)
	v_pk_mul_f32 v[20:21], v[0:1], v[6:7] op_sel_hi:[1,0]
	v_mov_b32_e32 v189, v7
	v_pk_fma_f32 v[170:171], v[0:1], v[138:139], v[20:21] op_sel:[0,0,1] op_sel_hi:[1,1,0] neg_lo:[0,0,1] neg_hi:[0,0,1]
	v_pk_fma_f32 v[0:1], v[0:1], v[138:139], v[20:21] op_sel:[0,0,1] op_sel_hi:[1,0,0]
	v_mov_b32_e32 v6, v7
	v_mov_b32_e32 v171, v1
	;; [unrolled: 1-line block ×4, first 2 shown]
	v_pk_add_f32 v[0:1], v[188:189], v[190:191]
	v_pk_add_f32 v[6:7], v[6:7], v[10:11] neg_lo:[0,1] neg_hi:[0,1]
	v_pk_add_f32 v[10:11], v[186:187], v[188:189] neg_lo:[0,1] neg_hi:[0,1]
	v_pk_add_f32 v[22:23], v[170:171], v[190:191] neg_lo:[0,1] neg_hi:[0,1]
	v_pk_add_f32 v[20:21], v[186:187], v[170:171] neg_lo:[0,1] neg_hi:[0,1]
	v_pk_fma_f32 v[0:1], v[0:1], 0.5, v[164:165] op_sel_hi:[1,0,1] neg_lo:[1,0,0] neg_hi:[1,0,0]
	v_pk_add_f32 v[192:193], v[10:11], v[22:23]
	v_pk_add_f32 v[22:23], v[188:189], v[186:187] neg_lo:[0,1] neg_hi:[0,1]
	v_pk_add_f32 v[24:25], v[190:191], v[170:171] neg_lo:[0,1] neg_hi:[0,1]
	v_pk_add_f32 v[10:11], v[186:187], v[170:171]
	v_pk_add_f32 v[194:195], v[22:23], v[24:25]
	v_pk_fma_f32 v[22:23], v[20:21], s[0:1], v[0:1] op_sel:[1,0,0] op_sel_hi:[0,0,1]
	v_pk_fma_f32 v[0:1], v[20:21], s[0:1], v[0:1] op_sel:[1,0,0] op_sel_hi:[0,0,1] neg_lo:[1,0,0] neg_hi:[1,0,0]
	v_pk_fma_f32 v[196:197], v[6:7], s[16:17], v[22:23] op_sel_hi:[1,0,1]
	v_pk_fma_f32 v[198:199], v[6:7], s[16:17], v[0:1] op_sel_hi:[1,0,1] neg_lo:[1,0,0] neg_hi:[1,0,0]
	v_pk_fma_f32 v[10:11], v[10:11], 0.5, v[164:165] op_sel_hi:[1,0,1] neg_lo:[1,0,0] neg_hi:[1,0,0]
	v_mov_b32_e32 v0, v198
	v_mov_b32_e32 v1, v197
	v_pk_fma_f32 v[232:233], v[192:193], s[14:15], v[0:1] op_sel_hi:[1,0,1]
	v_pk_fma_f32 v[0:1], v[6:7], s[0:1], v[10:11] op_sel_hi:[1,0,1] neg_lo:[1,0,0] neg_hi:[1,0,0]
	v_pk_fma_f32 v[6:7], v[6:7], s[0:1], v[10:11] op_sel_hi:[1,0,1]
	v_pk_fma_f32 v[202:203], v[20:21], s[16:17], v[0:1] op_sel:[1,0,0] op_sel_hi:[0,0,1]
	v_pk_fma_f32 v[200:201], v[20:21], s[16:17], v[6:7] op_sel:[1,0,0] op_sel_hi:[0,0,1] neg_lo:[1,0,0] neg_hi:[1,0,0]
	v_mov_b32_e32 v0, v202
	v_mov_b32_e32 v1, v201
	v_pk_mul_f32 v[6:7], v[166:167], v[160:161] op_sel:[0,1]
	v_pk_fma_f32 v[204:205], v[194:195], s[14:15], v[0:1] op_sel_hi:[1,0,1]
	v_pk_fma_f32 v[0:1], v[166:167], v[160:161], v[6:7] op_sel:[0,0,1] op_sel_hi:[1,1,0] neg_lo:[0,0,1] neg_hi:[0,0,1]
	v_pk_fma_f32 v[6:7], v[166:167], v[160:161], v[6:7] op_sel:[0,0,1] op_sel_hi:[1,0,0]
	v_add_u32_e32 v10, 0x2400, v214
	v_mov_b32_e32 v6, v163
	ds_read2_b64 v[20:23], v10 offset0:108 offset1:171
	v_mov_b32_e32 v1, v7
	s_waitcnt lgkmcnt(2)
	v_pk_mul_f32 v[6:7], v[180:181], v[6:7] op_sel_hi:[1,0]
	ds_read2_b64 v[174:177], v214 offset1:63
	v_pk_fma_f32 v[166:167], v[180:181], v[162:163], v[6:7] op_sel:[0,0,1] op_sel_hi:[1,1,0] neg_lo:[0,0,1] neg_hi:[0,0,1]
	v_pk_fma_f32 v[6:7], v[180:181], v[162:163], v[6:7] op_sel:[0,0,1] op_sel_hi:[1,0,0]
	v_add_u32_e32 v11, 0x1400, v214
	v_mov_b32_e32 v167, v7
	v_pk_mul_f32 v[6:7], v[178:179], v[156:157] op_sel:[0,1]
	ds_read2_b64 v[64:67], v11 offset0:116 offset1:179
	v_pk_fma_f32 v[206:207], v[178:179], v[156:157], v[6:7] op_sel:[0,0,1] op_sel_hi:[1,1,0] neg_lo:[0,0,1] neg_hi:[0,0,1]
	v_pk_fma_f32 v[6:7], v[178:179], v[156:157], v[6:7] op_sel:[0,0,1] op_sel_hi:[1,0,0]
	v_pk_add_f32 v[240:241], v[0:1], v[166:167] neg_lo:[0,1] neg_hi:[0,1]
	v_mov_b32_e32 v6, v159
	v_mov_b32_e32 v207, v7
	s_waitcnt lgkmcnt(2)
	v_pk_mul_f32 v[6:7], v[20:21], v[6:7] op_sel_hi:[1,0]
	v_pk_add_f32 v[236:237], v[166:167], v[206:207] neg_lo:[0,1] neg_hi:[0,1]
	v_pk_fma_f32 v[208:209], v[20:21], v[158:159], v[6:7] op_sel:[0,0,1] op_sel_hi:[1,1,0] neg_lo:[0,0,1] neg_hi:[0,0,1]
	v_pk_fma_f32 v[6:7], v[20:21], v[158:159], v[6:7] op_sel:[0,0,1] op_sel_hi:[1,0,0]
	v_pk_mul_f32 v[238:239], v[236:237], s[16:17] op_sel_hi:[1,0]
	v_mov_b32_e32 v209, v7
	s_waitcnt lgkmcnt(1)
	v_pk_add_f32 v[6:7], v[174:175], v[0:1]
	v_pk_add_f32 v[226:227], v[0:1], v[208:209] neg_lo:[0,1] neg_hi:[0,1]
	v_pk_add_f32 v[6:7], v[6:7], v[166:167]
	v_pk_mul_f32 v[234:235], v[226:227], s[0:1] op_sel_hi:[1,0]
	v_pk_add_f32 v[6:7], v[6:7], v[206:207]
	v_pk_add_f32 v[242:243], v[208:209], v[206:207] neg_lo:[0,1] neg_hi:[0,1]
	v_pk_add_f32 v[210:211], v[6:7], v[208:209]
	v_add_u32_e32 v6, 0x800, v214
	ds_read2_b64 v[24:27], v6 offset0:122 offset1:185
	v_add_u32_e32 v7, 0x2800, v214
	ds_read2_b64 v[178:181], v7 offset0:106 offset1:169
	v_pk_add_f32 v[240:241], v[240:241], v[242:243]
	v_mov_b32_e32 v197, v199
	s_waitcnt lgkmcnt(1)
	v_pk_mul_f32 v[220:221], v[26:27], v[140:141] op_sel:[0,1]
	v_pk_mul_f32 v[20:21], v[24:25], v[152:153] op_sel:[0,1]
	v_pk_fma_f32 v[222:223], v[26:27], v[140:141], v[220:221] op_sel:[0,0,1] op_sel_hi:[1,1,0] neg_lo:[0,0,1] neg_hi:[0,0,1]
	v_pk_fma_f32 v[26:27], v[26:27], v[140:141], v[220:221] op_sel:[0,0,1] op_sel_hi:[1,0,0]
	v_pk_fma_f32 v[216:217], v[24:25], v[152:153], v[20:21] op_sel:[0,0,1] op_sel_hi:[1,1,0] neg_lo:[0,0,1] neg_hi:[0,0,1]
	v_mov_b32_e32 v26, v143
	v_mov_b32_e32 v223, v27
	v_pk_mul_f32 v[26:27], v[64:65], v[26:27] op_sel_hi:[1,0]
	v_pk_fma_f32 v[20:21], v[24:25], v[152:153], v[20:21] op_sel:[0,0,1] op_sel_hi:[1,0,0]
	v_pk_fma_f32 v[220:221], v[64:65], v[142:143], v[26:27] op_sel:[0,0,1] op_sel_hi:[1,1,0] neg_lo:[0,0,1] neg_hi:[0,0,1]
	v_pk_fma_f32 v[26:27], v[64:65], v[142:143], v[26:27] op_sel:[0,0,1] op_sel_hi:[1,0,0]
	v_mov_b32_e32 v20, v155
	v_mov_b32_e32 v221, v27
	v_pk_mul_f32 v[26:27], v[58:59], v[132:133] op_sel:[0,1]
	v_mov_b32_e32 v217, v21
	v_pk_fma_f32 v[64:65], v[58:59], v[132:133], v[26:27] op_sel:[0,0,1] op_sel_hi:[1,1,0] neg_lo:[0,0,1] neg_hi:[0,0,1]
	v_pk_fma_f32 v[26:27], v[58:59], v[132:133], v[26:27] op_sel:[0,0,1] op_sel_hi:[1,0,0]
	v_pk_mul_f32 v[20:21], v[182:183], v[20:21] op_sel_hi:[1,0]
	v_mov_b32_e32 v26, v135
	v_mov_b32_e32 v65, v27
	s_waitcnt lgkmcnt(0)
	v_pk_mul_f32 v[26:27], v[178:179], v[26:27] op_sel_hi:[1,0]
	v_pk_fma_f32 v[24:25], v[182:183], v[154:155], v[20:21] op_sel:[0,0,1] op_sel_hi:[1,1,0] neg_lo:[0,0,1] neg_hi:[0,0,1]
	v_pk_fma_f32 v[58:59], v[178:179], v[134:135], v[26:27] op_sel:[0,0,1] op_sel_hi:[1,1,0] neg_lo:[0,0,1] neg_hi:[0,0,1]
	v_pk_fma_f32 v[26:27], v[178:179], v[134:135], v[26:27] op_sel:[0,0,1] op_sel_hi:[1,0,0]
	v_pk_mul_f32 v[178:179], v[172:173], v[128:129] op_sel:[0,1]
	v_pk_fma_f32 v[20:21], v[182:183], v[154:155], v[20:21] op_sel:[0,0,1] op_sel_hi:[1,0,0]
	v_pk_fma_f32 v[224:225], v[172:173], v[128:129], v[178:179] op_sel:[0,0,1] op_sel_hi:[1,1,0] neg_lo:[0,0,1] neg_hi:[0,0,1]
	v_pk_fma_f32 v[172:173], v[172:173], v[128:129], v[178:179] op_sel:[0,0,1] op_sel_hi:[1,0,0]
	v_mov_b32_e32 v25, v21
	v_mov_b32_e32 v172, v131
	;; [unrolled: 1-line block ×3, first 2 shown]
	v_pk_mul_f32 v[172:173], v[66:67], v[172:173] op_sel_hi:[1,0]
	v_pk_mul_f32 v[20:21], v[56:57], v[144:145] op_sel:[0,1]
	v_pk_fma_f32 v[178:179], v[66:67], v[130:131], v[172:173] op_sel:[0,0,1] op_sel_hi:[1,1,0] neg_lo:[0,0,1] neg_hi:[0,0,1]
	v_pk_fma_f32 v[66:67], v[66:67], v[130:131], v[172:173] op_sel:[0,0,1] op_sel_hi:[1,0,0]
	v_pk_fma_f32 v[182:183], v[56:57], v[144:145], v[20:21] op_sel:[0,0,1] op_sel_hi:[1,1,0] neg_lo:[0,0,1] neg_hi:[0,0,1]
	v_mov_b32_e32 v179, v67
	v_pk_mul_f32 v[66:67], v[168:169], v[124:125] op_sel:[0,1]
	v_pk_fma_f32 v[20:21], v[56:57], v[144:145], v[20:21] op_sel:[0,0,1] op_sel_hi:[1,0,0]
	v_pk_fma_f32 v[172:173], v[168:169], v[124:125], v[66:67] op_sel:[0,0,1] op_sel_hi:[1,1,0] neg_lo:[0,0,1] neg_hi:[0,0,1]
	v_pk_fma_f32 v[66:67], v[168:169], v[124:125], v[66:67] op_sel:[0,0,1] op_sel_hi:[1,0,0]
	v_mov_b32_e32 v20, v147
	v_mov_b32_e32 v66, v127
	;; [unrolled: 1-line block ×3, first 2 shown]
	v_pk_mul_f32 v[66:67], v[180:181], v[66:67] op_sel_hi:[1,0]
	v_mov_b32_e32 v183, v21
	v_pk_fma_f32 v[168:169], v[180:181], v[126:127], v[66:67] op_sel:[0,0,1] op_sel_hi:[1,1,0] neg_lo:[0,0,1] neg_hi:[0,0,1]
	v_pk_fma_f32 v[66:67], v[180:181], v[126:127], v[66:67] op_sel:[0,0,1] op_sel_hi:[1,0,0]
	v_pk_add_f32 v[180:181], v[166:167], v[206:207]
	v_pk_mul_f32 v[20:21], v[22:23], v[20:21] op_sel_hi:[1,0]
	v_pk_fma_f32 v[180:181], v[180:181], 0.5, v[174:175] op_sel_hi:[1,0,1] neg_lo:[1,0,0] neg_hi:[1,0,0]
	v_pk_fma_f32 v[56:57], v[22:23], v[146:147], v[20:21] op_sel:[0,0,1] op_sel_hi:[1,1,0] neg_lo:[0,0,1] neg_hi:[0,0,1]
	v_pk_fma_f32 v[20:21], v[22:23], v[146:147], v[20:21] op_sel:[0,0,1] op_sel_hi:[1,0,0]
	v_pk_add_f32 v[242:243], v[180:181], v[234:235] op_sel:[0,1] op_sel_hi:[1,0]
	v_pk_add_f32 v[180:181], v[180:181], v[234:235] op_sel:[0,1] op_sel_hi:[1,0] neg_lo:[0,1] neg_hi:[0,1]
	v_mov_b32_e32 v57, v21
	v_pk_add_f32 v[20:21], v[176:177], v[216:217]
	v_pk_add_f32 v[180:181], v[180:181], v[238:239] op_sel:[0,1] op_sel_hi:[1,0] neg_lo:[0,1] neg_hi:[0,1]
	v_pk_add_f32 v[234:235], v[242:243], v[238:239] op_sel:[0,1] op_sel_hi:[1,0]
	v_pk_add_f32 v[20:21], v[20:21], v[24:25]
	v_mov_b32_e32 v239, v181
	v_mov_b32_e32 v181, v235
	v_pk_add_f32 v[20:21], v[20:21], v[182:183]
	v_pk_fma_f32 v[180:181], v[240:241], s[14:15], v[180:181] op_sel_hi:[1,0,1]
	v_pk_add_f32 v[218:219], v[20:21], v[56:57]
	ds_read2_b64 v[20:23], v214 offset0:126 offset1:189
	ds_write_b64 v214, v[180:181] offset:10080
	v_pk_add_f32 v[180:181], v[0:1], v[208:209]
	v_pk_add_f32 v[0:1], v[166:167], v[0:1] neg_lo:[0,1] neg_hi:[0,1]
	v_pk_add_f32 v[166:167], v[206:207], v[208:209] neg_lo:[0,1] neg_hi:[0,1]
	v_pk_fma_f32 v[174:175], v[180:181], 0.5, v[174:175] op_sel_hi:[1,0,1] neg_lo:[1,0,0] neg_hi:[1,0,0]
	v_pk_add_f32 v[0:1], v[0:1], v[166:167]
	v_pk_mul_f32 v[166:167], v[236:237], s[0:1] op_sel_hi:[1,0]
	v_pk_mul_f32 v[180:181], v[226:227], s[16:17] op_sel_hi:[1,0]
	v_pk_add_f32 v[206:207], v[174:175], v[166:167] op_sel:[0,1] op_sel_hi:[1,0] neg_lo:[0,1] neg_hi:[0,1]
	v_pk_add_f32 v[166:167], v[174:175], v[166:167] op_sel:[0,1] op_sel_hi:[1,0]
	v_pk_add_f32 v[174:175], v[206:207], v[180:181] op_sel:[0,1] op_sel_hi:[1,0]
	v_pk_add_f32 v[166:167], v[166:167], v[180:181] op_sel:[0,1] op_sel_hi:[1,0] neg_lo:[0,1] neg_hi:[0,1]
	v_mov_b32_e32 v180, v174
	v_mov_b32_e32 v181, v167
	v_mov_b32_e32 v167, v175
	v_mov_b32_e32 v238, v234
	v_pk_fma_f32 v[180:181], v[0:1], s[14:15], v[180:181] op_sel_hi:[1,0,1]
	v_pk_fma_f32 v[0:1], v[0:1], s[14:15], v[166:167] op_sel_hi:[1,0,1]
	;; [unrolled: 1-line block ×3, first 2 shown]
	ds_write_b64 v214, v[180:181] offset:5040
	ds_write_b64 v214, v[0:1] offset:7560
	;; [unrolled: 1-line block ×3, first 2 shown]
	ds_write2_b64 v214, v[210:211], v[218:219] offset1:63
	v_pk_add_f32 v[0:1], v[24:25], v[182:183]
	v_pk_add_f32 v[166:167], v[216:217], v[56:57] neg_lo:[0,1] neg_hi:[0,1]
	v_pk_fma_f32 v[0:1], v[0:1], 0.5, v[176:177] op_sel_hi:[1,0,1] neg_lo:[1,0,0] neg_hi:[1,0,0]
	v_pk_mul_f32 v[174:175], v[166:167], s[0:1] op_sel_hi:[1,0]
	v_pk_add_f32 v[180:181], v[24:25], v[182:183] neg_lo:[0,1] neg_hi:[0,1]
	v_pk_add_f32 v[208:209], v[216:217], v[24:25] neg_lo:[0,1] neg_hi:[0,1]
	;; [unrolled: 1-line block ×3, first 2 shown]
	v_pk_mul_f32 v[206:207], v[180:181], s[16:17] op_sel_hi:[1,0]
	v_pk_add_f32 v[208:209], v[208:209], v[210:211]
	v_pk_add_f32 v[210:211], v[0:1], v[174:175] op_sel:[0,1] op_sel_hi:[1,0]
	v_pk_add_f32 v[0:1], v[0:1], v[174:175] op_sel:[0,1] op_sel_hi:[1,0] neg_lo:[0,1] neg_hi:[0,1]
	v_pk_add_f32 v[174:175], v[210:211], v[206:207] op_sel:[0,1] op_sel_hi:[1,0]
	v_pk_add_f32 v[0:1], v[0:1], v[206:207] op_sel:[0,1] op_sel_hi:[1,0] neg_lo:[0,1] neg_hi:[0,1]
	v_mov_b32_e32 v206, v174
	v_mov_b32_e32 v207, v1
	;; [unrolled: 1-line block ×3, first 2 shown]
	v_pk_add_f32 v[174:175], v[216:217], v[56:57]
	v_pk_add_f32 v[24:25], v[24:25], v[216:217] neg_lo:[0,1] neg_hi:[0,1]
	v_pk_add_f32 v[56:57], v[182:183], v[56:57] neg_lo:[0,1] neg_hi:[0,1]
	v_pk_fma_f32 v[174:175], v[174:175], 0.5, v[176:177] op_sel_hi:[1,0,1] neg_lo:[1,0,0] neg_hi:[1,0,0]
	v_pk_add_f32 v[24:25], v[24:25], v[56:57]
	v_pk_mul_f32 v[56:57], v[180:181], s[0:1] op_sel_hi:[1,0]
	v_pk_mul_f32 v[166:167], v[166:167], s[16:17] op_sel_hi:[1,0]
	v_pk_add_f32 v[176:177], v[174:175], v[56:57] op_sel:[0,1] op_sel_hi:[1,0] neg_lo:[0,1] neg_hi:[0,1]
	v_pk_add_f32 v[56:57], v[174:175], v[56:57] op_sel:[0,1] op_sel_hi:[1,0]
	v_mov_b32_e32 v59, v27
	v_pk_add_f32 v[56:57], v[56:57], v[166:167] op_sel:[0,1] op_sel_hi:[1,0] neg_lo:[0,1] neg_hi:[0,1]
	v_pk_add_f32 v[166:167], v[176:177], v[166:167] op_sel:[0,1] op_sel_hi:[1,0]
	v_mov_b32_e32 v175, v57
	v_mov_b32_e32 v174, v166
	;; [unrolled: 1-line block ×3, first 2 shown]
	v_pk_fma_f32 v[174:175], v[24:25], s[14:15], v[174:175] op_sel_hi:[1,0,1]
	v_pk_fma_f32 v[24:25], v[24:25], s[14:15], v[56:57] op_sel_hi:[1,0,1]
	v_pk_add_f32 v[56:57], v[220:221], v[64:65]
	v_pk_add_f32 v[166:167], v[222:223], v[58:59] neg_lo:[0,1] neg_hi:[0,1]
	v_pk_fma_f32 v[206:207], v[208:209], s[14:15], v[206:207] op_sel_hi:[1,0,1]
	v_pk_fma_f32 v[0:1], v[208:209], s[14:15], v[0:1] op_sel_hi:[1,0,1]
	s_waitcnt lgkmcnt(5)
	v_pk_fma_f32 v[56:57], v[56:57], 0.5, v[20:21] op_sel_hi:[1,0,1] neg_lo:[1,0,0] neg_hi:[1,0,0]
	v_pk_mul_f32 v[176:177], v[166:167], s[0:1] op_sel_hi:[1,0]
	v_pk_add_f32 v[180:181], v[220:221], v[64:65] neg_lo:[0,1] neg_hi:[0,1]
	v_pk_add_f32 v[208:209], v[222:223], v[220:221] neg_lo:[0,1] neg_hi:[0,1]
	;; [unrolled: 1-line block ×3, first 2 shown]
	v_pk_mul_f32 v[182:183], v[180:181], s[16:17] op_sel_hi:[1,0]
	v_pk_add_f32 v[208:209], v[208:209], v[210:211]
	v_pk_add_f32 v[210:211], v[56:57], v[176:177] op_sel:[0,1] op_sel_hi:[1,0]
	v_pk_add_f32 v[56:57], v[56:57], v[176:177] op_sel:[0,1] op_sel_hi:[1,0] neg_lo:[0,1] neg_hi:[0,1]
	v_pk_add_f32 v[176:177], v[210:211], v[182:183] op_sel:[0,1] op_sel_hi:[1,0]
	v_pk_add_f32 v[56:57], v[56:57], v[182:183] op_sel:[0,1] op_sel_hi:[1,0] neg_lo:[0,1] neg_hi:[0,1]
	v_pk_add_f32 v[26:27], v[20:21], v[222:223]
	v_mov_b32_e32 v183, v57
	v_mov_b32_e32 v57, v177
	v_pk_fma_f32 v[56:57], v[208:209], s[14:15], v[56:57] op_sel_hi:[1,0,1]
	ds_write2_b64 v7, v[0:1], v[56:57] offset0:43 offset1:106
	v_pk_add_f32 v[0:1], v[222:223], v[58:59]
	v_pk_add_f32 v[26:27], v[26:27], v[220:221]
	v_pk_fma_f32 v[0:1], v[0:1], 0.5, v[20:21] op_sel_hi:[1,0,1] neg_lo:[1,0,0] neg_hi:[1,0,0]
	v_pk_add_f32 v[20:21], v[220:221], v[222:223] neg_lo:[0,1] neg_hi:[0,1]
	v_pk_add_f32 v[56:57], v[64:65], v[58:59] neg_lo:[0,1] neg_hi:[0,1]
	v_pk_add_f32 v[26:27], v[26:27], v[64:65]
	v_pk_add_f32 v[20:21], v[20:21], v[56:57]
	v_pk_mul_f32 v[56:57], v[180:181], s[0:1] op_sel_hi:[1,0]
	v_pk_add_f32 v[26:27], v[26:27], v[58:59]
	v_pk_mul_f32 v[58:59], v[166:167], s[16:17] op_sel_hi:[1,0]
	v_pk_add_f32 v[64:65], v[0:1], v[56:57] op_sel:[0,1] op_sel_hi:[1,0] neg_lo:[0,1] neg_hi:[0,1]
	v_pk_add_f32 v[0:1], v[0:1], v[56:57] op_sel:[0,1] op_sel_hi:[1,0]
	v_mov_b32_e32 v169, v67
	v_pk_add_f32 v[66:67], v[22:23], v[224:225]
	v_pk_add_f32 v[0:1], v[0:1], v[58:59] op_sel:[0,1] op_sel_hi:[1,0] neg_lo:[0,1] neg_hi:[0,1]
	v_pk_add_f32 v[56:57], v[64:65], v[58:59] op_sel:[0,1] op_sel_hi:[1,0]
	v_pk_add_f32 v[66:67], v[66:67], v[178:179]
	v_mov_b32_e32 v59, v1
	v_mov_b32_e32 v1, v57
	v_pk_add_f32 v[66:67], v[66:67], v[172:173]
	v_mov_b32_e32 v182, v176
	v_mov_b32_e32 v58, v56
	v_pk_fma_f32 v[0:1], v[20:21], s[14:15], v[0:1] op_sel_hi:[1,0,1]
	v_pk_add_f32 v[66:67], v[66:67], v[168:169]
	v_pk_fma_f32 v[182:183], v[208:209], s[14:15], v[182:183] op_sel_hi:[1,0,1]
	v_pk_fma_f32 v[58:59], v[20:21], s[14:15], v[58:59] op_sel_hi:[1,0,1]
	ds_write2_b64 v9, v[24:25], v[0:1] offset0:112 offset1:175
	ds_write2_b64 v5, v[174:175], v[58:59] offset0:181 offset1:244
	;; [unrolled: 1-line block ×4, first 2 shown]
	v_pk_add_f32 v[0:1], v[178:179], v[172:173]
	v_pk_add_f32 v[20:21], v[224:225], v[168:169] neg_lo:[0,1] neg_hi:[0,1]
	v_pk_fma_f32 v[0:1], v[0:1], 0.5, v[22:23] op_sel_hi:[1,0,1] neg_lo:[1,0,0] neg_hi:[1,0,0]
	v_pk_mul_f32 v[24:25], v[20:21], s[0:1] op_sel_hi:[1,0]
	v_pk_add_f32 v[26:27], v[178:179], v[172:173] neg_lo:[0,1] neg_hi:[0,1]
	v_pk_add_f32 v[58:59], v[224:225], v[178:179] neg_lo:[0,1] neg_hi:[0,1]
	;; [unrolled: 1-line block ×3, first 2 shown]
	v_pk_mul_f32 v[56:57], v[26:27], s[16:17] op_sel_hi:[1,0]
	v_pk_add_f32 v[58:59], v[58:59], v[64:65]
	v_pk_add_f32 v[64:65], v[0:1], v[24:25] op_sel:[0,1] op_sel_hi:[1,0]
	v_pk_add_f32 v[0:1], v[0:1], v[24:25] op_sel:[0,1] op_sel_hi:[1,0] neg_lo:[0,1] neg_hi:[0,1]
	v_pk_add_f32 v[24:25], v[64:65], v[56:57] op_sel:[0,1] op_sel_hi:[1,0]
	v_pk_add_f32 v[0:1], v[0:1], v[56:57] op_sel:[0,1] op_sel_hi:[1,0] neg_lo:[0,1] neg_hi:[0,1]
	v_pk_add_f32 v[64:65], v[224:225], v[168:169]
	v_mov_b32_e32 v57, v1
	v_mov_b32_e32 v1, v25
	v_pk_fma_f32 v[0:1], v[58:59], s[14:15], v[0:1] op_sel_hi:[1,0,1]
	v_pk_fma_f32 v[22:23], v[64:65], 0.5, v[22:23] op_sel_hi:[1,0,1] neg_lo:[1,0,0] neg_hi:[1,0,0]
	v_pk_add_f32 v[64:65], v[178:179], v[224:225] neg_lo:[0,1] neg_hi:[0,1]
	v_pk_add_f32 v[66:67], v[172:173], v[168:169] neg_lo:[0,1] neg_hi:[0,1]
	v_pk_mul_f32 v[26:27], v[26:27], s[0:1] op_sel_hi:[1,0]
	ds_write_b64 v214, v[0:1] offset:11592
	v_pk_add_f32 v[0:1], v[164:165], v[186:187]
	v_pk_add_f32 v[64:65], v[64:65], v[66:67]
	v_pk_mul_f32 v[20:21], v[20:21], s[16:17] op_sel_hi:[1,0]
	v_pk_add_f32 v[66:67], v[22:23], v[26:27] op_sel:[0,1] op_sel_hi:[1,0] neg_lo:[0,1] neg_hi:[0,1]
	v_pk_add_f32 v[22:23], v[22:23], v[26:27] op_sel:[0,1] op_sel_hi:[1,0]
	v_pk_add_f32 v[0:1], v[0:1], v[188:189]
	v_pk_add_f32 v[22:23], v[22:23], v[20:21] op_sel:[0,1] op_sel_hi:[1,0] neg_lo:[0,1] neg_hi:[0,1]
	v_pk_add_f32 v[20:21], v[66:67], v[20:21] op_sel:[0,1] op_sel_hi:[1,0]
	v_pk_add_f32 v[0:1], v[0:1], v[190:191]
	v_mov_b32_e32 v56, v24
	v_mov_b32_e32 v26, v20
	;; [unrolled: 1-line block ×4, first 2 shown]
	v_pk_add_f32 v[0:1], v[0:1], v[170:171]
	v_pk_fma_f32 v[56:57], v[58:59], s[14:15], v[56:57] op_sel_hi:[1,0,1]
	v_pk_fma_f32 v[26:27], v[64:65], s[14:15], v[26:27] op_sel_hi:[1,0,1]
	;; [unrolled: 1-line block ×3, first 2 shown]
	ds_write_b64 v214, v[0:1] offset:2016
	v_pk_fma_f32 v[0:1], v[192:193], s[14:15], v[196:197] op_sel_hi:[1,0,1]
	v_mov_b32_e32 v201, v203
	s_mov_b64 s[0:1], 0x3138
	ds_write_b64 v214, v[26:27] offset:6552
	ds_write_b64 v214, v[20:21] offset:9072
	ds_write2_b64 v8, v[56:57], v[0:1] offset0:120 offset1:183
	ds_write_b64 v214, v[204:205] offset:7056
	v_pk_fma_f32 v[0:1], v[194:195], s[14:15], v[200:201] op_sel_hi:[1,0,1]
	v_lshl_add_u64 v[170:171], v[184:185], 0, s[0:1]
	s_movk_i32 s0, 0x3000
	ds_write_b64 v214, v[0:1] offset:9576
	ds_write_b64 v214, v[232:233] offset:12096
	v_add_co_u32_e32 v0, vcc, s0, v184
	s_waitcnt lgkmcnt(0)
	s_nop 0
	v_addc_co_u32_e32 v1, vcc, 0, v185, vcc
	; wave barrier
	global_load_dwordx2 v[0:1], v[0:1], off offset:312
	ds_read2_b64 v[20:23], v214 offset1:63
	s_movk_i32 s0, 0x4000
	v_add_co_u32_e32 v174, vcc, s0, v184
	s_movk_i32 s0, 0x5000
	s_nop 0
	v_addc_co_u32_e32 v175, vcc, 0, v185, vcc
	v_add_co_u32_e32 v172, vcc, s0, v184
	s_waitcnt vmcnt(0) lgkmcnt(0)
	v_mul_f32_e32 v24, v21, v1
	v_mul_f32_e32 v25, v20, v1
	v_fma_f32 v24, v20, v0, -v24
	v_fmac_f32_e32 v25, v21, v0
	global_load_dwordx2 v[0:1], v[174:175], off offset:416
	ds_write_b64 v214, v[24:25]
	ds_read2_b64 v[24:27], v5 offset0:13 offset1:76
	v_addc_co_u32_e32 v173, vcc, 0, v185, vcc
	ds_read2_b64 v[56:59], v4 offset0:26 offset1:89
	ds_read2_b64 v[166:169], v3 offset0:135 offset1:198
	s_waitcnt vmcnt(0) lgkmcnt(2)
	v_mul_f32_e32 v20, v25, v1
	v_mul_f32_e32 v179, v24, v1
	v_fma_f32 v178, v24, v0, -v20
	v_fmac_f32_e32 v179, v25, v0
	global_load_dwordx2 v[0:1], v[172:173], off offset:520
	s_waitcnt vmcnt(0) lgkmcnt(1)
	v_mul_f32_e32 v20, v57, v1
	v_mul_f32_e32 v177, v56, v1
	v_fma_f32 v176, v56, v0, -v20
	v_fmac_f32_e32 v177, v57, v0
	global_load_dwordx2 v[0:1], v[170:171], off offset:504
	s_waitcnt vmcnt(0)
	v_mul_f32_e32 v20, v23, v1
	v_mul_f32_e32 v25, v22, v1
	v_fma_f32 v24, v22, v0, -v20
	v_fmac_f32_e32 v25, v23, v0
	global_load_dwordx2 v[0:1], v[174:175], off offset:920
	s_waitcnt vmcnt(0)
	;; [unrolled: 6-line block ×3, first 2 shown]
	v_mul_f32_e32 v20, v59, v1
	v_mul_f32_e32 v65, v58, v1
	v_fma_f32 v64, v58, v0, -v20
	v_fmac_f32_e32 v65, v59, v0
	global_load_dwordx2 v[0:1], v[170:171], off offset:1008
	ds_read2_b64 v[20:23], v214 offset0:126 offset1:189
	s_waitcnt vmcnt(0) lgkmcnt(0)
	v_mul_f32_e32 v26, v21, v1
	v_mul_f32_e32 v27, v20, v1
	v_fma_f32 v26, v20, v0, -v26
	v_fmac_f32_e32 v27, v21, v0
	global_load_dwordx2 v[0:1], v[174:175], off offset:1424
	ds_write2_b64 v214, v[24:25], v[26:27] offset0:63 offset1:126
	ds_read2_b64 v[24:27], v5 offset0:139 offset1:202
	s_waitcnt vmcnt(0) lgkmcnt(0)
	v_mul_f32_e32 v20, v25, v1
	v_mul_f32_e32 v21, v24, v1
	v_fma_f32 v20, v24, v0, -v20
	v_fmac_f32_e32 v21, v25, v0
	global_load_dwordx2 v[0:1], v[172:173], off offset:1528
	ds_write2_b64 v5, v[56:57], v[20:21] offset0:76 offset1:139
	;; [unrolled: 8-line block ×3, first 2 shown]
	s_waitcnt vmcnt(0)
	v_mul_f32_e32 v20, v23, v1
	v_mul_f32_e32 v25, v22, v1
	v_fma_f32 v24, v22, v0, -v20
	v_fmac_f32_e32 v25, v23, v0
	global_load_dwordx2 v[0:1], v[174:175], off offset:1928
	s_waitcnt vmcnt(0)
	v_mul_f32_e32 v20, v27, v1
	v_mul_f32_e32 v57, v26, v1
	v_fma_f32 v56, v26, v0, -v20
	v_fmac_f32_e32 v57, v27, v0
	global_load_dwordx2 v[0:1], v[172:173], off offset:2032
	;; [unrolled: 6-line block ×3, first 2 shown]
	ds_read2_b64 v[20:23], v2 offset0:124 offset1:187
	s_waitcnt vmcnt(0) lgkmcnt(0)
	v_mul_f32_e32 v26, v21, v1
	v_mul_f32_e32 v27, v20, v1
	v_fma_f32 v26, v20, v0, -v26
	v_fmac_f32_e32 v27, v21, v0
	global_load_dwordx2 v[0:1], v[174:175], off offset:2432
	ds_write2_b64 v214, v[24:25], v[26:27] offset0:189 offset1:252
	ds_read2_b64 v[24:27], v3 offset0:9 offset1:72
	s_waitcnt vmcnt(0) lgkmcnt(0)
	v_mul_f32_e32 v20, v25, v1
	v_mul_f32_e32 v21, v24, v1
	v_fma_f32 v20, v24, v0, -v20
	v_fmac_f32_e32 v21, v25, v0
	global_load_dwordx2 v[0:1], v[172:173], off offset:2536
	ds_write2_b64 v11, v[56:57], v[20:21] offset0:74 offset1:137
	;; [unrolled: 8-line block ×3, first 2 shown]
	s_waitcnt vmcnt(0)
	v_mul_f32_e32 v10, v23, v1
	v_mul_f32_e32 v11, v22, v1
	v_fma_f32 v10, v22, v0, -v10
	v_fmac_f32_e32 v11, v23, v0
	global_load_dwordx2 v[0:1], v[174:175], off offset:2936
	s_waitcnt vmcnt(0)
	v_mul_f32_e32 v20, v27, v1
	v_mul_f32_e32 v25, v26, v1
	v_fma_f32 v24, v26, v0, -v20
	v_fmac_f32_e32 v25, v27, v0
	global_load_dwordx2 v[0:1], v[172:173], off offset:3040
	;; [unrolled: 6-line block ×3, first 2 shown]
	ds_read2_b64 v[20:23], v6 offset0:122 offset1:185
	s_waitcnt vmcnt(0) lgkmcnt(0)
	v_mul_f32_e32 v36, v21, v1
	v_mul_f32_e32 v57, v20, v1
	v_fma_f32 v56, v20, v0, -v36
	v_fmac_f32_e32 v57, v21, v0
	global_load_dwordx2 v[0:1], v[174:175], off offset:3440
	ds_write2_b64 v6, v[10:11], v[56:57] offset0:59 offset1:122
	s_waitcnt vmcnt(0)
	v_mul_f32_e32 v10, v167, v1
	v_mul_f32_e32 v11, v166, v1
	v_fma_f32 v10, v166, v0, -v10
	v_fmac_f32_e32 v11, v167, v0
	global_load_dwordx2 v[0:1], v[172:173], off offset:3544
	ds_read2_b64 v[164:167], v7 offset0:148 offset1:211
	ds_write2_b64 v3, v[24:25], v[10:11] offset0:72 offset1:135
	s_waitcnt vmcnt(0) lgkmcnt(1)
	v_mul_f32_e32 v10, v165, v1
	v_mul_f32_e32 v11, v164, v1
	v_fma_f32 v10, v164, v0, -v10
	v_fmac_f32_e32 v11, v165, v0
	global_load_dwordx2 v[0:1], v[170:171], off offset:3528
	ds_write2_b64 v7, v[26:27], v[10:11] offset0:85 offset1:148
	s_waitcnt vmcnt(0)
	v_mul_f32_e32 v10, v23, v1
	v_mul_f32_e32 v11, v22, v1
	v_fma_f32 v10, v22, v0, -v10
	v_fmac_f32_e32 v11, v23, v0
	global_load_dwordx2 v[0:1], v[174:175], off offset:3944
	ds_write2_b64 v8, v[10:11], v[178:179] offset0:57 offset1:141
	s_waitcnt vmcnt(0)
	;; [unrolled: 7-line block ×3, first 2 shown]
	v_mul_f32_e32 v8, v167, v1
	v_mul_f32_e32 v9, v166, v1
	v_fma_f32 v8, v166, v0, -v8
	v_fmac_f32_e32 v9, v167, v0
	ds_write_b64 v214, v[8:9] offset:11928
	s_and_saveexec_b64 s[0:1], s[6:7]
	s_cbranch_execz .LBB0_17
; %bb.16:
	global_load_dwordx2 v[8:9], v[170:171], off offset:4032
	ds_read_b64 v[0:1], v214 offset:4032
	s_waitcnt vmcnt(0) lgkmcnt(0)
	v_mul_f32_e32 v10, v1, v9
	v_mul_f32_e32 v11, v0, v9
	v_fma_f32 v10, v0, v8, -v10
	v_fmac_f32_e32 v11, v1, v8
	v_add_co_u32_e32 v8, vcc, 0x2000, v170
	ds_read_b64 v[0:1], v214 offset:8232
	s_nop 0
	v_addc_co_u32_e32 v9, vcc, 0, v171, vcc
	global_load_dwordx2 v[8:9], v[8:9], off offset:40
	ds_write_b64 v214, v[10:11] offset:4032
	s_waitcnt vmcnt(0) lgkmcnt(1)
	v_mul_f32_e32 v10, v1, v9
	v_mul_f32_e32 v11, v0, v9
	v_fma_f32 v10, v0, v8, -v10
	v_fmac_f32_e32 v11, v1, v8
	v_add_co_u32_e32 v8, vcc, 0x3000, v170
	ds_read_b64 v[0:1], v214 offset:12432
	s_nop 0
	v_addc_co_u32_e32 v9, vcc, 0, v171, vcc
	global_load_dwordx2 v[8:9], v[8:9], off offset:144
	ds_write_b64 v214, v[10:11] offset:8232
	s_waitcnt vmcnt(0) lgkmcnt(1)
	v_mul_f32_e32 v10, v1, v9
	v_mul_f32_e32 v11, v0, v9
	v_fma_f32 v10, v0, v8, -v10
	v_fmac_f32_e32 v11, v1, v8
	ds_write_b64 v214, v[10:11] offset:12432
.LBB0_17:
	s_or_b64 exec, exec, s[0:1]
	s_waitcnt lgkmcnt(0)
	; wave barrier
	s_waitcnt lgkmcnt(0)
	ds_read2_b64 v[200:203], v214 offset1:63
	ds_read2_b64 v[204:207], v5 offset0:13 offset1:76
	ds_read2_b64 v[208:211], v4 offset0:26 offset1:89
	;; [unrolled: 1-line block ×11, first 2 shown]
	s_and_saveexec_b64 s[0:1], s[6:7]
	s_cbranch_execz .LBB0_19
; %bb.18:
	ds_read_b64 v[232:233], v214 offset:4032
	ds_read_b64 v[228:229], v214 offset:8232
	ds_read_b64 v[230:231], v214 offset:12432
.LBB0_19:
	s_or_b64 exec, exec, s[0:1]
	s_waitcnt lgkmcnt(1)
	v_pk_add_f32 v[24:25], v[232:233], v[228:229]
	s_waitcnt lgkmcnt(0)
	v_pk_add_f32 v[26:27], v[228:229], v[230:231] neg_lo:[0,1] neg_hi:[0,1]
	v_pk_add_f32 v[234:235], v[230:231], v[24:25]
	v_pk_add_f32 v[24:25], v[230:231], v[228:229]
	s_mov_b32 s0, 0x3f5db3d7
	v_pk_fma_f32 v[24:25], v[24:25], 0.5, v[232:233] op_sel_hi:[1,0,1] neg_lo:[1,0,0] neg_hi:[1,0,0]
	v_pk_mul_f32 v[26:27], v[26:27], s[0:1] op_sel_hi:[1,0]
	v_pk_add_f32 v[0:1], v[200:201], v[204:205]
	v_pk_add_f32 v[228:229], v[24:25], v[26:27] op_sel:[0,1] op_sel_hi:[1,0]
	v_pk_add_f32 v[230:231], v[24:25], v[26:27] op_sel:[0,1] op_sel_hi:[1,0] neg_lo:[0,1] neg_hi:[0,1]
	v_pk_add_f32 v[24:25], v[204:205], v[208:209]
	v_pk_add_f32 v[26:27], v[204:205], v[208:209] neg_lo:[0,1] neg_hi:[0,1]
	v_pk_fma_f32 v[24:25], v[24:25], 0.5, v[200:201] op_sel_hi:[1,0,1] neg_lo:[1,0,0] neg_hi:[1,0,0]
	v_pk_mul_f32 v[26:27], v[26:27], s[0:1] op_sel_hi:[1,0]
	v_pk_add_f32 v[2:3], v[202:203], v[206:207]
	v_pk_add_f32 v[56:57], v[24:25], v[26:27] op_sel:[0,1] op_sel_hi:[1,0] neg_lo:[0,1] neg_hi:[0,1]
	v_pk_add_f32 v[24:25], v[24:25], v[26:27] op_sel:[0,1] op_sel_hi:[1,0]
	v_pk_add_f32 v[0:1], v[0:1], v[208:209]
	v_mov_b32_e32 v26, v56
	v_mov_b32_e32 v27, v25
	;; [unrolled: 1-line block ×3, first 2 shown]
	s_waitcnt lgkmcnt(0)
	; wave barrier
	ds_write2_b64 v104, v[0:1], v[26:27] offset1:1
	ds_write_b64 v104, v[24:25] offset:16
	v_pk_add_f32 v[0:1], v[2:3], v[210:211]
	v_pk_add_f32 v[2:3], v[206:207], v[210:211]
	v_pk_add_f32 v[24:25], v[206:207], v[210:211] neg_lo:[0,1] neg_hi:[0,1]
	v_pk_fma_f32 v[2:3], v[2:3], 0.5, v[202:203] op_sel_hi:[1,0,1] neg_lo:[1,0,0] neg_hi:[1,0,0]
	v_pk_mul_f32 v[24:25], v[24:25], s[0:1] op_sel_hi:[1,0]
	v_pk_add_f32 v[4:5], v[188:189], v[192:193]
	v_pk_add_f32 v[26:27], v[2:3], v[24:25] op_sel:[0,1] op_sel_hi:[1,0] neg_lo:[0,1] neg_hi:[0,1]
	v_pk_add_f32 v[2:3], v[2:3], v[24:25] op_sel:[0,1] op_sel_hi:[1,0]
	v_mov_b32_e32 v24, v26
	v_mov_b32_e32 v25, v3
	;; [unrolled: 1-line block ×3, first 2 shown]
	ds_write2_b64 v105, v[0:1], v[24:25] offset1:1
	ds_write_b64 v105, v[2:3] offset:16
	v_pk_add_f32 v[0:1], v[4:5], v[196:197]
	v_pk_add_f32 v[2:3], v[192:193], v[196:197]
	v_pk_add_f32 v[4:5], v[192:193], v[196:197] neg_lo:[0,1] neg_hi:[0,1]
	v_pk_fma_f32 v[2:3], v[2:3], 0.5, v[188:189] op_sel_hi:[1,0,1] neg_lo:[1,0,0] neg_hi:[1,0,0]
	v_pk_mul_f32 v[4:5], v[4:5], s[0:1] op_sel_hi:[1,0]
	v_pk_add_f32 v[6:7], v[190:191], v[194:195]
	v_pk_add_f32 v[24:25], v[2:3], v[4:5] op_sel:[0,1] op_sel_hi:[1,0] neg_lo:[0,1] neg_hi:[0,1]
	v_pk_add_f32 v[2:3], v[2:3], v[4:5] op_sel:[0,1] op_sel_hi:[1,0]
	v_mov_b32_e32 v4, v24
	v_mov_b32_e32 v5, v3
	;; [unrolled: 1-line block ×3, first 2 shown]
	ds_write2_b64 v106, v[0:1], v[4:5] offset1:1
	ds_write_b64 v106, v[2:3] offset:16
	v_pk_add_f32 v[2:3], v[194:195], v[198:199]
	v_pk_add_f32 v[4:5], v[194:195], v[198:199] neg_lo:[0,1] neg_hi:[0,1]
	v_pk_fma_f32 v[2:3], v[2:3], 0.5, v[190:191] op_sel_hi:[1,0,1] neg_lo:[1,0,0] neg_hi:[1,0,0]
	v_pk_mul_f32 v[4:5], v[4:5], s[0:1] op_sel_hi:[1,0]
	v_pk_add_f32 v[0:1], v[6:7], v[198:199]
	v_pk_add_f32 v[6:7], v[2:3], v[4:5] op_sel:[0,1] op_sel_hi:[1,0] neg_lo:[0,1] neg_hi:[0,1]
	v_pk_add_f32 v[2:3], v[2:3], v[4:5] op_sel:[0,1] op_sel_hi:[1,0]
	v_mov_b32_e32 v4, v6
	v_mov_b32_e32 v5, v3
	v_mov_b32_e32 v3, v7
	ds_write2_b64 v107, v[0:1], v[4:5] offset1:1
	ds_write_b64 v107, v[2:3] offset:16
	v_pk_add_f32 v[2:3], v[180:181], v[184:185]
	v_pk_add_f32 v[4:5], v[180:181], v[184:185] neg_lo:[0,1] neg_hi:[0,1]
	v_pk_fma_f32 v[2:3], v[2:3], 0.5, v[176:177] op_sel_hi:[1,0,1] neg_lo:[1,0,0] neg_hi:[1,0,0]
	v_pk_mul_f32 v[4:5], v[4:5], s[0:1] op_sel_hi:[1,0]
	v_pk_add_f32 v[8:9], v[176:177], v[180:181]
	v_pk_add_f32 v[6:7], v[2:3], v[4:5] op_sel:[0,1] op_sel_hi:[1,0] neg_lo:[0,1] neg_hi:[0,1]
	v_pk_add_f32 v[2:3], v[2:3], v[4:5] op_sel:[0,1] op_sel_hi:[1,0]
	v_pk_add_f32 v[0:1], v[8:9], v[184:185]
	v_mov_b32_e32 v4, v6
	v_mov_b32_e32 v5, v3
	v_mov_b32_e32 v3, v7
	ds_write2_b64 v108, v[0:1], v[4:5] offset1:1
	ds_write_b64 v108, v[2:3] offset:16
	v_pk_add_f32 v[2:3], v[182:183], v[186:187]
	v_pk_add_f32 v[4:5], v[182:183], v[186:187] neg_lo:[0,1] neg_hi:[0,1]
	v_pk_fma_f32 v[2:3], v[2:3], 0.5, v[178:179] op_sel_hi:[1,0,1] neg_lo:[1,0,0] neg_hi:[1,0,0]
	v_pk_mul_f32 v[4:5], v[4:5], s[0:1] op_sel_hi:[1,0]
	v_pk_add_f32 v[10:11], v[178:179], v[182:183]
	v_pk_add_f32 v[6:7], v[2:3], v[4:5] op_sel:[0,1] op_sel_hi:[1,0] neg_lo:[0,1] neg_hi:[0,1]
	v_pk_add_f32 v[2:3], v[2:3], v[4:5] op_sel:[0,1] op_sel_hi:[1,0]
	v_pk_add_f32 v[0:1], v[10:11], v[186:187]
	;; [unrolled: 13-line block ×4, first 2 shown]
	v_mov_b32_e32 v4, v6
	v_mov_b32_e32 v5, v3
	;; [unrolled: 1-line block ×3, first 2 shown]
	ds_write2_b64 v111, v[0:1], v[4:5] offset1:1
	ds_write_b64 v111, v[2:3] offset:16
	s_and_saveexec_b64 s[0:1], s[6:7]
	s_cbranch_execz .LBB0_21
; %bb.20:
	v_lshlrev_b32_e32 v2, 3, v212
	v_mov_b32_e32 v0, v230
	v_mov_b32_e32 v1, v229
	ds_write2_b64 v2, v[234:235], v[0:1] offset1:1
	v_mov_b32_e32 v0, v228
	v_mov_b32_e32 v1, v231
	ds_write_b64 v2, v[0:1] offset:16
.LBB0_21:
	s_or_b64 exec, exec, s[0:1]
	v_add_u32_e32 v0, 0x1000, v214
	v_add_u32_e32 v1, 0x2000, v214
	s_waitcnt lgkmcnt(0)
	; wave barrier
	s_waitcnt lgkmcnt(0)
	ds_read2_b64 v[200:203], v214 offset1:63
	ds_read2_b64 v[208:211], v0 offset0:13 offset1:76
	ds_read2_b64 v[204:207], v1 offset0:26 offset1:89
	;; [unrolled: 1-line block ×5, first 2 shown]
	v_add_u32_e32 v0, 0x400, v214
	ds_read2_b64 v[176:179], v0 offset0:124 offset1:187
	v_add_u32_e32 v0, 0x1800, v214
	v_add_u32_e32 v1, 0x2800, v214
	;; [unrolled: 1-line block ×3, first 2 shown]
	ds_read2_b64 v[184:187], v0 offset0:9 offset1:72
	ds_read2_b64 v[180:183], v1 offset0:22 offset1:85
	;; [unrolled: 1-line block ×5, first 2 shown]
	s_and_saveexec_b64 s[0:1], s[2:3]
	s_xor_b64 s[0:1], exec, s[0:1]
	s_or_saveexec_b64 s[0:1], s[0:1]
	v_mov_b32_e32 v106, v28
	v_mov_b32_e32 v107, v28
	;; [unrolled: 1-line block ×48, first 2 shown]
	s_xor_b64 exec, exec, s[0:1]
	s_cbranch_execz .LBB0_23
; %bb.22:
	ds_read_b64 v[8:9], v214 offset:12432
	ds_read_b64 v[230:231], v214 offset:8232
	;; [unrolled: 1-line block ×3, first 2 shown]
	s_waitcnt lgkmcnt(2)
	v_mov_b32_e32 v228, v8
	s_waitcnt lgkmcnt(1)
	v_mov_b32_e32 v229, v231
	v_mov_b32_e32 v231, v9
.LBB0_23:
	s_or_b64 exec, exec, s[0:1]
	v_accvgpr_read_b32 v36, a102
	v_accvgpr_read_b32 v37, a103
	;; [unrolled: 1-line block ×4, first 2 shown]
	v_mov_b32_e32 v240, v36
	v_mov_b32_e32 v241, v36
	;; [unrolled: 1-line block ×6, first 2 shown]
	v_accvgpr_write_b32 a105, v39
	v_accvgpr_write_b32 a104, v38
	;; [unrolled: 1-line block ×4, first 2 shown]
	v_accvgpr_read_b32 v36, a94
	v_accvgpr_read_b32 v68, a68
	v_accvgpr_read_b32 v37, a95
	v_accvgpr_read_b32 v38, a96
	v_accvgpr_read_b32 v39, a97
	v_accvgpr_read_b32 v69, a69
	v_mov_b32_e32 v236, v36
	v_mov_b32_e32 v237, v36
	;; [unrolled: 1-line block ×6, first 2 shown]
	v_accvgpr_write_b32 a97, v39
	s_waitcnt lgkmcnt(1)
	v_pk_mul_f32 v[60:61], v[12:13], v[174:175]
	v_accvgpr_read_b32 v70, a70
	v_accvgpr_read_b32 v71, a71
	v_pk_mul_f32 v[12:13], v[68:69], v[228:229] op_sel:[0,1]
	v_accvgpr_write_b32 a96, v38
	v_accvgpr_write_b32 a95, v37
	;; [unrolled: 1-line block ×3, first 2 shown]
	v_pk_mul_f32 v[36:37], v[16:17], v[196:197]
	v_pk_mul_f32 v[38:39], v[18:19], v[192:193]
	s_waitcnt lgkmcnt(0)
	v_pk_mul_f32 v[62:63], v[14:15], v[170:171]
	v_pk_mul_f32 v[14:15], v[70:71], v[230:231] op_sel:[0,1]
	v_pk_fma_f32 v[18:19], v[68:69], v[230:231], v[12:13] op_sel:[0,0,1] op_sel_hi:[1,0,0] neg_lo:[1,0,0] neg_hi:[1,0,0]
	v_pk_fma_f32 v[16:17], v[68:69], v[230:231], v[12:13] op_sel:[0,0,1] op_sel_hi:[1,0,0]
	v_pk_fma_f32 v[12:13], v[70:71], v[228:229], v[14:15] op_sel:[0,0,1] op_sel_hi:[1,0,0] neg_lo:[1,0,0] neg_hi:[1,0,0]
	v_mov_b32_e32 v17, v19
	v_pk_fma_f32 v[18:19], v[70:71], v[228:229], v[14:15] op_sel:[0,0,1] op_sel_hi:[1,0,0]
	s_mov_b32 s0, 0x3f5db3d7
	v_mov_b32_e32 v19, v13
	v_pk_add_f32 v[12:13], v[18:19], v[16:17]
	v_pk_add_f32 v[14:15], v[16:17], v[18:19] neg_lo:[0,1] neg_hi:[0,1]
	v_pk_fma_f32 v[12:13], v[12:13], 0.5, v[234:235] op_sel_hi:[1,0,1] neg_lo:[1,0,0] neg_hi:[1,0,0]
	v_pk_mul_f32 v[228:229], v[14:15], s[0:1] op_sel_hi:[1,0]
	v_pk_mul_f32 v[28:29], v[28:29], v[208:209]
	v_pk_add_f32 v[14:15], v[12:13], v[228:229] op_sel:[0,1] op_sel_hi:[1,0]
	v_pk_add_f32 v[228:229], v[12:13], v[228:229] op_sel:[0,1] op_sel_hi:[1,0] neg_lo:[0,1] neg_hi:[0,1]
	v_pk_mul_f32 v[30:31], v[30:31], v[204:205]
	v_mov_b32_e32 v12, v228
	v_mov_b32_e32 v13, v15
	;; [unrolled: 1-line block ×3, first 2 shown]
	v_pk_fma_f32 v[228:229], v[106:107], v[208:209], v[28:29] op_sel:[0,0,1] op_sel_hi:[1,1,0]
	v_pk_fma_f32 v[28:29], v[106:107], v[208:209], v[28:29] op_sel:[0,0,1] op_sel_hi:[1,1,0] neg_lo:[0,0,1] neg_hi:[0,0,1]
	v_pk_mul_f32 v[32:33], v[32:33], v[210:211]
	v_mov_b32_e32 v229, v29
	v_pk_fma_f32 v[28:29], v[104:105], v[204:205], v[30:31] op_sel:[0,0,1] op_sel_hi:[1,1,0]
	v_pk_fma_f32 v[30:31], v[104:105], v[204:205], v[30:31] op_sel:[0,0,1] op_sel_hi:[1,1,0] neg_lo:[0,0,1] neg_hi:[0,0,1]
	v_accvgpr_read_b32 v68, a76
	v_mov_b32_e32 v29, v31
	v_pk_add_f32 v[30:31], v[200:201], v[228:229]
	v_pk_add_f32 v[104:105], v[228:229], v[28:29]
	;; [unrolled: 1-line block ×3, first 2 shown]
	v_pk_add_f32 v[28:29], v[228:229], v[28:29] neg_lo:[0,1] neg_hi:[0,1]
	v_pk_fma_f32 v[104:105], v[104:105], 0.5, v[200:201] op_sel_hi:[1,0,1] neg_lo:[1,0,0] neg_hi:[1,0,0]
	v_pk_mul_f32 v[28:29], v[28:29], s[0:1] op_sel_hi:[1,0]
	v_pk_mul_f32 v[34:35], v[34:35], v[206:207]
	v_pk_add_f32 v[106:107], v[104:105], v[28:29] op_sel:[0,1] op_sel_hi:[1,0] neg_lo:[0,1] neg_hi:[0,1]
	v_pk_add_f32 v[28:29], v[104:105], v[28:29] op_sel:[0,1] op_sel_hi:[1,0]
	v_mov_b32_e32 v104, v106
	v_mov_b32_e32 v105, v29
	;; [unrolled: 1-line block ×3, first 2 shown]
	s_waitcnt lgkmcnt(0)
	; wave barrier
	ds_write2_b64 v68, v[30:31], v[104:105] offset1:3
	ds_write_b64 v68, v[28:29] offset:48
	v_pk_fma_f32 v[28:29], v[66:67], v[210:211], v[32:33] op_sel:[0,0,1] op_sel_hi:[1,1,0]
	v_pk_fma_f32 v[30:31], v[66:67], v[210:211], v[32:33] op_sel:[0,0,1] op_sel_hi:[1,1,0] neg_lo:[0,0,1] neg_hi:[0,0,1]
	v_pk_fma_f32 v[32:33], v[64:65], v[206:207], v[34:35] op_sel:[0,0,1] op_sel_hi:[1,1,0] neg_lo:[0,0,1] neg_hi:[0,0,1]
	v_mov_b32_e32 v29, v31
	v_pk_fma_f32 v[30:31], v[64:65], v[206:207], v[34:35] op_sel:[0,0,1] op_sel_hi:[1,1,0]
	v_pk_mul_f32 v[52:53], v[52:53], v[198:199]
	v_mov_b32_e32 v31, v33
	v_pk_add_f32 v[32:33], v[202:203], v[28:29]
	v_pk_add_f32 v[34:35], v[28:29], v[30:31]
	v_pk_add_f32 v[28:29], v[28:29], v[30:31] neg_lo:[0,1] neg_hi:[0,1]
	v_pk_fma_f32 v[34:35], v[34:35], 0.5, v[202:203] op_sel_hi:[1,0,1] neg_lo:[1,0,0] neg_hi:[1,0,0]
	v_pk_mul_f32 v[28:29], v[28:29], s[0:1] op_sel_hi:[1,0]
	v_pk_add_f32 v[32:33], v[32:33], v[30:31]
	v_pk_add_f32 v[30:31], v[34:35], v[28:29] op_sel:[0,1] op_sel_hi:[1,0] neg_lo:[0,1] neg_hi:[0,1]
	v_pk_add_f32 v[28:29], v[34:35], v[28:29] op_sel:[0,1] op_sel_hi:[1,0]
	v_mov_b32_e32 v34, v30
	v_mov_b32_e32 v35, v29
	v_accvgpr_read_b32 v30, a82
	v_mov_b32_e32 v29, v31
	ds_write_b64 v30, v[28:29] offset:48
	v_pk_fma_f32 v[28:29], v[22:23], v[196:197], v[36:37] op_sel:[0,0,1] op_sel_hi:[1,1,0]
	v_pk_fma_f32 v[22:23], v[22:23], v[196:197], v[36:37] op_sel:[0,0,1] op_sel_hi:[1,1,0] neg_lo:[0,0,1] neg_hi:[0,0,1]
	ds_write2_b64 v30, v[32:33], v[34:35] offset1:3
	v_mov_b32_e32 v29, v23
	v_pk_fma_f32 v[22:23], v[20:21], v[192:193], v[38:39] op_sel:[0,0,1] op_sel_hi:[1,1,0]
	v_pk_fma_f32 v[20:21], v[20:21], v[192:193], v[38:39] op_sel:[0,0,1] op_sel_hi:[1,1,0] neg_lo:[0,0,1] neg_hi:[0,0,1]
	v_pk_mul_f32 v[54:55], v[54:55], v[194:195]
	v_mov_b32_e32 v23, v21
	v_pk_add_f32 v[20:21], v[188:189], v[28:29]
	v_pk_add_f32 v[30:31], v[28:29], v[22:23]
	;; [unrolled: 1-line block ×3, first 2 shown]
	v_pk_add_f32 v[22:23], v[28:29], v[22:23] neg_lo:[0,1] neg_hi:[0,1]
	v_pk_fma_f32 v[30:31], v[30:31], 0.5, v[188:189] op_sel_hi:[1,0,1] neg_lo:[1,0,0] neg_hi:[1,0,0]
	v_pk_mul_f32 v[22:23], v[22:23], s[0:1] op_sel_hi:[1,0]
	v_pk_mul_f32 v[48:49], v[48:49], v[184:185]
	v_pk_add_f32 v[28:29], v[30:31], v[22:23] op_sel:[0,1] op_sel_hi:[1,0] neg_lo:[0,1] neg_hi:[0,1]
	v_pk_add_f32 v[22:23], v[30:31], v[22:23] op_sel:[0,1] op_sel_hi:[1,0]
	v_mov_b32_e32 v30, v28
	v_mov_b32_e32 v31, v23
	v_accvgpr_read_b32 v28, a83
	v_mov_b32_e32 v23, v29
	ds_write2_b64 v28, v[20:21], v[30:31] offset1:3
	ds_write_b64 v28, v[22:23] offset:48
	v_pk_fma_f32 v[20:21], v[110:111], v[198:199], v[52:53] op_sel:[0,0,1] op_sel_hi:[1,1,0]
	v_pk_fma_f32 v[22:23], v[110:111], v[198:199], v[52:53] op_sel:[0,0,1] op_sel_hi:[1,1,0] neg_lo:[0,0,1] neg_hi:[0,0,1]
	v_pk_fma_f32 v[28:29], v[108:109], v[194:195], v[54:55] op_sel:[0,0,1] op_sel_hi:[1,1,0] neg_lo:[0,0,1] neg_hi:[0,0,1]
	v_mov_b32_e32 v21, v23
	v_pk_fma_f32 v[22:23], v[108:109], v[194:195], v[54:55] op_sel:[0,0,1] op_sel_hi:[1,1,0]
	v_pk_mul_f32 v[50:51], v[50:51], v[180:181]
	v_mov_b32_e32 v23, v29
	v_pk_add_f32 v[28:29], v[190:191], v[20:21]
	v_pk_add_f32 v[30:31], v[20:21], v[22:23]
	v_pk_add_f32 v[20:21], v[20:21], v[22:23] neg_lo:[0,1] neg_hi:[0,1]
	v_pk_fma_f32 v[30:31], v[30:31], 0.5, v[190:191] op_sel_hi:[1,0,1] neg_lo:[1,0,0] neg_hi:[1,0,0]
	v_pk_mul_f32 v[20:21], v[20:21], s[0:1] op_sel_hi:[1,0]
	v_pk_add_f32 v[28:29], v[28:29], v[22:23]
	v_pk_add_f32 v[22:23], v[30:31], v[20:21] op_sel:[0,1] op_sel_hi:[1,0] neg_lo:[0,1] neg_hi:[0,1]
	v_pk_add_f32 v[20:21], v[30:31], v[20:21] op_sel:[0,1] op_sel_hi:[1,0]
	v_mov_b32_e32 v30, v22
	v_mov_b32_e32 v31, v21
	v_accvgpr_read_b32 v22, a84
	v_mov_b32_e32 v21, v23
	ds_write2_b64 v22, v[28:29], v[30:31] offset1:3
	ds_write_b64 v22, v[20:21] offset:48
	v_pk_fma_f32 v[20:21], v[58:59], v[184:185], v[48:49] op_sel:[0,0,1] op_sel_hi:[1,1,0]
	v_pk_fma_f32 v[22:23], v[58:59], v[184:185], v[48:49] op_sel:[0,0,1] op_sel_hi:[1,1,0] neg_lo:[0,0,1] neg_hi:[0,0,1]
	v_pk_fma_f32 v[28:29], v[56:57], v[180:181], v[50:51] op_sel:[0,0,1] op_sel_hi:[1,1,0] neg_lo:[0,0,1] neg_hi:[0,0,1]
	v_mov_b32_e32 v21, v23
	v_pk_fma_f32 v[22:23], v[56:57], v[180:181], v[50:51] op_sel:[0,0,1] op_sel_hi:[1,1,0]
	v_pk_mul_f32 v[44:45], v[44:45], v[186:187]
	v_mov_b32_e32 v23, v29
	v_pk_add_f32 v[28:29], v[20:21], v[22:23]
	v_pk_add_f32 v[30:31], v[20:21], v[22:23] neg_lo:[0,1] neg_hi:[0,1]
	v_pk_fma_f32 v[28:29], v[28:29], 0.5, v[176:177] op_sel_hi:[1,0,1] neg_lo:[1,0,0] neg_hi:[1,0,0]
	v_pk_mul_f32 v[30:31], v[30:31], s[0:1] op_sel_hi:[1,0]
	v_pk_add_f32 v[20:21], v[176:177], v[20:21]
	v_pk_add_f32 v[32:33], v[28:29], v[30:31] op_sel:[0,1] op_sel_hi:[1,0]
	v_pk_add_f32 v[28:29], v[28:29], v[30:31] op_sel:[0,1] op_sel_hi:[1,0] neg_lo:[0,1] neg_hi:[0,1]
	v_pk_add_f32 v[20:21], v[20:21], v[22:23]
	v_mov_b32_e32 v22, v28
	v_mov_b32_e32 v23, v33
	v_accvgpr_read_b32 v28, a90
	v_pk_mul_f32 v[46:47], v[46:47], v[182:183]
	ds_write2_b64 v28, v[20:21], v[22:23] offset1:3
	v_pk_fma_f32 v[20:21], v[26:27], v[186:187], v[44:45] op_sel:[0,0,1] op_sel_hi:[1,1,0]
	v_pk_fma_f32 v[22:23], v[26:27], v[186:187], v[44:45] op_sel:[0,0,1] op_sel_hi:[1,1,0] neg_lo:[0,0,1] neg_hi:[0,0,1]
	v_mov_b32_e32 v33, v29
	v_mov_b32_e32 v21, v23
	v_pk_fma_f32 v[22:23], v[24:25], v[182:183], v[46:47] op_sel:[0,0,1] op_sel_hi:[1,1,0]
	v_pk_fma_f32 v[24:25], v[24:25], v[182:183], v[46:47] op_sel:[0,0,1] op_sel_hi:[1,1,0] neg_lo:[0,0,1] neg_hi:[0,0,1]
	ds_write_b64 v28, v[32:33] offset:48
	v_mov_b32_e32 v23, v25
	v_pk_add_f32 v[24:25], v[20:21], v[22:23]
	v_pk_add_f32 v[26:27], v[20:21], v[22:23] neg_lo:[0,1] neg_hi:[0,1]
	v_pk_fma_f32 v[24:25], v[24:25], 0.5, v[178:179] op_sel_hi:[1,0,1] neg_lo:[1,0,0] neg_hi:[1,0,0]
	v_pk_mul_f32 v[26:27], v[26:27], s[0:1] op_sel_hi:[1,0]
	v_pk_add_f32 v[20:21], v[178:179], v[20:21]
	v_pk_add_f32 v[28:29], v[24:25], v[26:27] op_sel:[0,1] op_sel_hi:[1,0]
	v_pk_add_f32 v[24:25], v[24:25], v[26:27] op_sel:[0,1] op_sel_hi:[1,0] neg_lo:[0,1] neg_hi:[0,1]
	v_pk_mul_f32 v[40:41], v[40:41], v[172:173]
	v_pk_add_f32 v[20:21], v[20:21], v[22:23]
	v_mov_b32_e32 v22, v24
	v_mov_b32_e32 v23, v29
	v_accvgpr_read_b32 v24, a91
	v_pk_mul_f32 v[42:43], v[42:43], v[168:169]
	ds_write2_b64 v24, v[20:21], v[22:23] offset1:3
	v_pk_fma_f32 v[20:21], v[6:7], v[172:173], v[40:41] op_sel:[0,0,1] op_sel_hi:[1,1,0]
	v_pk_fma_f32 v[6:7], v[6:7], v[172:173], v[40:41] op_sel:[0,0,1] op_sel_hi:[1,1,0] neg_lo:[0,0,1] neg_hi:[0,0,1]
	v_mov_b32_e32 v29, v25
	v_mov_b32_e32 v21, v7
	v_pk_fma_f32 v[6:7], v[4:5], v[168:169], v[42:43] op_sel:[0,0,1] op_sel_hi:[1,1,0]
	v_pk_fma_f32 v[4:5], v[4:5], v[168:169], v[42:43] op_sel:[0,0,1] op_sel_hi:[1,1,0] neg_lo:[0,0,1] neg_hi:[0,0,1]
	ds_write_b64 v24, v[28:29] offset:48
	v_mov_b32_e32 v7, v5
	v_pk_add_f32 v[4:5], v[20:21], v[6:7]
	v_pk_add_f32 v[22:23], v[20:21], v[6:7] neg_lo:[0,1] neg_hi:[0,1]
	v_pk_fma_f32 v[4:5], v[4:5], 0.5, v[164:165] op_sel_hi:[1,0,1] neg_lo:[1,0,0] neg_hi:[1,0,0]
	v_pk_mul_f32 v[22:23], v[22:23], s[0:1] op_sel_hi:[1,0]
	v_pk_add_f32 v[20:21], v[164:165], v[20:21]
	v_pk_add_f32 v[24:25], v[4:5], v[22:23] op_sel:[0,1] op_sel_hi:[1,0]
	v_pk_add_f32 v[4:5], v[4:5], v[22:23] op_sel:[0,1] op_sel_hi:[1,0] neg_lo:[0,1] neg_hi:[0,1]
	v_pk_add_f32 v[6:7], v[20:21], v[6:7]
	v_mov_b32_e32 v20, v4
	v_mov_b32_e32 v21, v25
	v_accvgpr_read_b32 v4, a92
	v_mov_b32_e32 v25, v5
	ds_write2_b64 v4, v[6:7], v[20:21] offset1:3
	ds_write_b64 v4, v[24:25] offset:48
	v_pk_fma_f32 v[4:5], v[2:3], v[174:175], v[60:61] op_sel:[0,0,1] op_sel_hi:[1,1,0]
	v_pk_fma_f32 v[2:3], v[2:3], v[174:175], v[60:61] op_sel:[0,0,1] op_sel_hi:[1,1,0] neg_lo:[0,0,1] neg_hi:[0,0,1]
	v_mov_b32_e32 v244, v96
	v_mov_b32_e32 v5, v3
	v_pk_fma_f32 v[2:3], v[0:1], v[170:171], v[62:63] op_sel:[0,0,1] op_sel_hi:[1,1,0]
	v_pk_fma_f32 v[0:1], v[0:1], v[170:171], v[62:63] op_sel:[0,0,1] op_sel_hi:[1,1,0] neg_lo:[0,0,1] neg_hi:[0,0,1]
	v_mov_b32_e32 v245, v96
	v_mov_b32_e32 v3, v1
	v_pk_add_f32 v[0:1], v[4:5], v[2:3]
	v_pk_add_f32 v[6:7], v[4:5], v[2:3] neg_lo:[0,1] neg_hi:[0,1]
	v_pk_fma_f32 v[0:1], v[0:1], 0.5, v[166:167] op_sel_hi:[1,0,1] neg_lo:[1,0,0] neg_hi:[1,0,0]
	v_pk_mul_f32 v[6:7], v[6:7], s[0:1] op_sel_hi:[1,0]
	v_pk_add_f32 v[4:5], v[166:167], v[4:5]
	v_pk_add_f32 v[20:21], v[0:1], v[6:7] op_sel:[0,1] op_sel_hi:[1,0]
	v_pk_add_f32 v[0:1], v[0:1], v[6:7] op_sel:[0,1] op_sel_hi:[1,0] neg_lo:[0,1] neg_hi:[0,1]
	v_mov_b32_e32 v96, v97
	v_mov_b32_e32 v10, v98
	;; [unrolled: 1-line block ×46, first 2 shown]
	v_pk_add_f32 v[2:3], v[4:5], v[2:3]
	v_mov_b32_e32 v4, v0
	v_mov_b32_e32 v5, v21
	v_accvgpr_read_b32 v0, a93
	v_mov_b32_e32 v21, v1
	ds_write2_b64 v0, v[2:3], v[4:5] offset1:3
	ds_write_b64 v0, v[20:21] offset:48
	s_and_saveexec_b64 s[0:1], s[6:7]
	s_cbranch_execz .LBB0_25
; %bb.24:
	v_accvgpr_read_b32 v0, a107
	v_lshlrev_b32_e32 v2, 3, v0
	v_pk_add_f32 v[0:1], v[234:235], v[16:17]
	s_nop 0
	v_pk_add_f32 v[0:1], v[18:19], v[0:1]
	ds_write2_b64 v2, v[0:1], v[12:13] offset1:3
	ds_write_b64 v2, v[14:15] offset:48
.LBB0_25:
	s_or_b64 exec, exec, s[0:1]
	v_add_u32_e32 v104, 0xc00, v214
	s_waitcnt lgkmcnt(0)
	; wave barrier
	s_waitcnt lgkmcnt(0)
	ds_read2_b64 v[4:7], v104 offset0:120 offset1:183
	v_add_u32_e32 v105, 0x1800, v214
	ds_read2_b64 v[18:21], v105 offset0:114 offset1:177
	v_add_u32_e32 v0, 0x400, v214
	v_add_u32_e32 v106, 0x2000, v214
	ds_read2_b64 v[32:35], v0 offset0:124 offset1:187
	ds_read2_b64 v[22:25], v106 offset0:110 offset1:173
	ds_read_b64 v[16:17], v214 offset:12096
	s_waitcnt lgkmcnt(4)
	v_pk_mul_f32 v[2:3], v[96:97], v[6:7]
	s_mov_b32 s2, 0x3f737871
	v_pk_fma_f32 v[0:1], v[244:245], v[6:7], v[2:3] op_sel:[0,0,1] op_sel_hi:[1,1,0]
	v_pk_fma_f32 v[2:3], v[244:245], v[6:7], v[2:3] op_sel:[0,0,1] op_sel_hi:[1,1,0] neg_lo:[0,0,1] neg_hi:[0,0,1]
	s_waitcnt lgkmcnt(3)
	v_pk_mul_f32 v[6:7], v[98:99], v[18:19]
	v_mov_b32_e32 v1, v3
	v_pk_fma_f32 v[2:3], v[10:11], v[18:19], v[6:7] op_sel:[0,0,1] op_sel_hi:[1,1,0]
	v_pk_fma_f32 v[6:7], v[10:11], v[18:19], v[6:7] op_sel:[0,0,1] op_sel_hi:[1,1,0] neg_lo:[0,0,1] neg_hi:[0,0,1]
	s_mov_b32 s14, 0x3f167918
	v_mov_b32_e32 v3, v7
	s_waitcnt lgkmcnt(1)
	v_pk_mul_f32 v[6:7], v[84:85], v[24:25]
	s_mov_b32 s0, 0x3e9e377a
	v_pk_fma_f32 v[10:11], v[8:9], v[24:25], v[6:7] op_sel:[0,0,1] op_sel_hi:[1,1,0]
	v_pk_fma_f32 v[6:7], v[8:9], v[24:25], v[6:7] op_sel:[0,0,1] op_sel_hi:[1,1,0] neg_lo:[0,0,1] neg_hi:[0,0,1]
	v_add_u32_e32 v84, 0x1400, v214
	v_mov_b32_e32 v11, v7
	s_waitcnt lgkmcnt(0)
	v_pk_mul_f32 v[6:7], v[86:87], v[16:17]
	v_pk_add_f32 v[24:25], v[2:3], v[10:11] neg_lo:[0,1] neg_hi:[0,1]
	v_pk_fma_f32 v[8:9], v[226:227], v[16:17], v[6:7] op_sel:[0,0,1] op_sel_hi:[1,1,0]
	v_pk_fma_f32 v[6:7], v[226:227], v[16:17], v[6:7] op_sel:[0,0,1] op_sel_hi:[1,1,0] neg_lo:[0,0,1] neg_hi:[0,0,1]
	v_pk_add_f32 v[16:17], v[0:1], v[2:3] neg_lo:[0,1] neg_hi:[0,1]
	v_mov_b32_e32 v9, v7
	v_pk_add_f32 v[6:7], v[2:3], v[10:11]
	v_pk_add_f32 v[18:19], v[0:1], v[8:9] neg_lo:[0,1] neg_hi:[0,1]
	v_pk_fma_f32 v[6:7], v[6:7], 0.5, v[32:33] op_sel_hi:[1,0,1] neg_lo:[1,0,0] neg_hi:[1,0,0]
	v_pk_add_f32 v[26:27], v[8:9], v[10:11] neg_lo:[0,1] neg_hi:[0,1]
	ds_read2_b64 v[36:39], v84 offset0:116 offset1:179
	v_pk_add_f32 v[26:27], v[16:17], v[26:27]
	v_pk_fma_f32 v[16:17], v[18:19], s[2:3], v[6:7] op_sel:[1,0,0] op_sel_hi:[0,0,1] neg_lo:[1,0,0] neg_hi:[1,0,0]
	v_pk_fma_f32 v[6:7], v[18:19], s[2:3], v[6:7] op_sel:[1,0,0] op_sel_hi:[0,0,1]
	v_pk_fma_f32 v[6:7], v[24:25], s[14:15], v[6:7] op_sel:[1,0,0] op_sel_hi:[0,0,1]
	v_pk_fma_f32 v[28:29], v[24:25], s[14:15], v[16:17] op_sel:[1,0,0] op_sel_hi:[0,0,1] neg_lo:[1,0,0] neg_hi:[1,0,0]
	v_mov_b32_e32 v17, v7
	v_mov_b32_e32 v7, v29
	;; [unrolled: 1-line block ×3, first 2 shown]
	v_pk_fma_f32 v[30:31], v[26:27], s[0:1], v[6:7] op_sel_hi:[1,0,1]
	v_pk_add_f32 v[6:7], v[0:1], v[8:9]
	v_pk_fma_f32 v[16:17], v[26:27], s[0:1], v[16:17] op_sel_hi:[1,0,1]
	v_pk_fma_f32 v[6:7], v[6:7], 0.5, v[32:33] op_sel_hi:[1,0,1] neg_lo:[1,0,0] neg_hi:[1,0,0]
	v_pk_add_f32 v[26:27], v[2:3], v[0:1] neg_lo:[0,1] neg_hi:[0,1]
	v_pk_add_f32 v[28:29], v[10:11], v[8:9] neg_lo:[0,1] neg_hi:[0,1]
	v_add_u32_e32 v85, 0x2800, v214
	v_pk_add_f32 v[26:27], v[26:27], v[28:29]
	v_pk_fma_f32 v[28:29], v[24:25], s[2:3], v[6:7] op_sel:[1,0,0] op_sel_hi:[0,0,1]
	v_pk_fma_f32 v[6:7], v[24:25], s[2:3], v[6:7] op_sel:[1,0,0] op_sel_hi:[0,0,1] neg_lo:[1,0,0] neg_hi:[1,0,0]
	v_pk_fma_f32 v[6:7], v[18:19], s[14:15], v[6:7] op_sel:[1,0,0] op_sel_hi:[0,0,1]
	v_pk_fma_f32 v[24:25], v[18:19], s[14:15], v[28:29] op_sel:[1,0,0] op_sel_hi:[0,0,1] neg_lo:[1,0,0] neg_hi:[1,0,0]
	v_mov_b32_e32 v19, v7
	v_mov_b32_e32 v7, v25
	v_pk_fma_f32 v[28:29], v[26:27], s[0:1], v[6:7] op_sel_hi:[1,0,1]
	v_pk_mul_f32 v[6:7], v[100:101], v[4:5]
	ds_read2_b64 v[40:43], v85 offset0:106 offset1:169
	v_pk_fma_f32 v[52:53], v[254:255], v[4:5], v[6:7] op_sel:[0,0,1] op_sel_hi:[1,1,0]
	v_pk_fma_f32 v[4:5], v[254:255], v[4:5], v[6:7] op_sel:[0,0,1] op_sel_hi:[1,1,0] neg_lo:[0,0,1] neg_hi:[0,0,1]
	v_mov_b32_e32 v18, v24
	v_mov_b32_e32 v53, v5
	s_waitcnt lgkmcnt(1)
	v_pk_mul_f32 v[4:5], v[102:103], v[38:39]
	v_pk_fma_f32 v[18:19], v[26:27], s[0:1], v[18:19] op_sel_hi:[1,0,1]
	ds_read2_b64 v[24:27], v214 offset0:126 offset1:189
	v_pk_fma_f32 v[54:55], v[224:225], v[38:39], v[4:5] op_sel:[0,0,1] op_sel_hi:[1,1,0]
	v_pk_fma_f32 v[4:5], v[224:225], v[38:39], v[4:5] op_sel:[0,0,1] op_sel_hi:[1,1,0] neg_lo:[0,0,1] neg_hi:[0,0,1]
	v_add_u32_e32 v86, 0x800, v214
	v_mov_b32_e32 v55, v5
	v_pk_mul_f32 v[4:5], v[88:89], v[22:23]
	v_add_u32_e32 v87, 0x1000, v214
	v_pk_fma_f32 v[56:57], v[222:223], v[22:23], v[4:5] op_sel:[0,0,1] op_sel_hi:[1,1,0]
	v_pk_fma_f32 v[4:5], v[222:223], v[22:23], v[4:5] op_sel:[0,0,1] op_sel_hi:[1,1,0] neg_lo:[0,0,1] neg_hi:[0,0,1]
	v_accvgpr_read_b32 v68, a102
	v_mov_b32_e32 v57, v5
	s_waitcnt lgkmcnt(1)
	v_pk_mul_f32 v[4:5], v[90:91], v[42:43]
	v_accvgpr_read_b32 v69, a103
	v_pk_fma_f32 v[22:23], v[220:221], v[42:43], v[4:5] op_sel:[0,0,1] op_sel_hi:[1,1,0]
	v_pk_fma_f32 v[4:5], v[220:221], v[42:43], v[4:5] op_sel:[0,0,1] op_sel_hi:[1,1,0] neg_lo:[0,0,1] neg_hi:[0,0,1]
	v_accvgpr_read_b32 v70, a104
	v_mov_b32_e32 v23, v5
	s_waitcnt lgkmcnt(0)
	v_pk_add_f32 v[4:5], v[26:27], v[52:53]
	v_accvgpr_read_b32 v71, a105
	v_pk_add_f32 v[38:39], v[4:5], v[54:55]
	ds_read2_b64 v[4:7], v86 offset0:122 offset1:185
	v_pk_add_f32 v[38:39], v[38:39], v[56:57]
	v_pk_add_f32 v[0:1], v[32:33], v[0:1]
	;; [unrolled: 1-line block ×3, first 2 shown]
	v_add_u32_e32 v38, 0x1c00, v214
	ds_read2_b64 v[42:45], v38 offset0:112 offset1:175
	s_waitcnt lgkmcnt(1)
	v_pk_mul_f32 v[38:39], v[92:93], v[6:7]
	v_pk_add_f32 v[0:1], v[0:1], v[2:3]
	v_pk_fma_f32 v[60:61], v[218:219], v[6:7], v[38:39] op_sel:[0,0,1] op_sel_hi:[1,1,0]
	v_pk_fma_f32 v[6:7], v[218:219], v[6:7], v[38:39] op_sel:[0,0,1] op_sel_hi:[1,1,0] neg_lo:[0,0,1] neg_hi:[0,0,1]
	v_pk_add_f32 v[0:1], v[0:1], v[10:11]
	v_mov_b32_e32 v61, v7
	v_pk_mul_f32 v[6:7], v[94:95], v[36:37]
	v_pk_add_f32 v[0:1], v[0:1], v[8:9]
	v_pk_fma_f32 v[62:63], v[216:217], v[36:37], v[6:7] op_sel:[0,0,1] op_sel_hi:[1,1,0]
	v_pk_fma_f32 v[6:7], v[216:217], v[36:37], v[6:7] op_sel:[0,0,1] op_sel_hi:[1,1,0] neg_lo:[0,0,1] neg_hi:[0,0,1]
	ds_read2_b64 v[36:39], v214 offset1:63
	v_mov_b32_e32 v63, v7
	s_waitcnt lgkmcnt(1)
	v_pk_mul_f32 v[6:7], v[80:81], v[44:45]
	v_accvgpr_read_b32 v2, a118
	v_pk_fma_f32 v[64:65], v[212:213], v[44:45], v[6:7] op_sel:[0,0,1] op_sel_hi:[1,1,0]
	v_pk_fma_f32 v[6:7], v[212:213], v[44:45], v[6:7] op_sel:[0,0,1] op_sel_hi:[1,1,0] neg_lo:[0,0,1] neg_hi:[0,0,1]
	ds_read2_b64 v[44:47], v87 offset0:118 offset1:181
	v_mov_b32_e32 v65, v7
	v_pk_mul_f32 v[6:7], v[82:83], v[40:41]
	s_nop 0
	v_pk_fma_f32 v[66:67], v[252:253], v[40:41], v[6:7] op_sel:[0,0,1] op_sel_hi:[1,1,0]
	v_pk_fma_f32 v[6:7], v[252:253], v[40:41], v[6:7] op_sel:[0,0,1] op_sel_hi:[1,1,0] neg_lo:[0,0,1] neg_hi:[0,0,1]
	v_add_u32_e32 v40, 0x2400, v214
	ds_read2_b64 v[48:51], v40 offset0:108 offset1:171
	v_pk_mul_f32 v[40:41], v[76:77], v[4:5]
	s_waitcnt lgkmcnt(0)
	v_pk_fma_f32 v[76:77], v[250:251], v[4:5], v[40:41] op_sel:[0,0,1] op_sel_hi:[1,1,0]
	v_pk_fma_f32 v[4:5], v[250:251], v[4:5], v[40:41] op_sel:[0,0,1] op_sel_hi:[1,1,0] neg_lo:[0,0,1] neg_hi:[0,0,1]
	; wave barrier
	s_nop 0
	v_mov_b32_e32 v77, v5
	v_pk_mul_f32 v[4:5], v[78:79], v[46:47]
	v_mov_b32_e32 v67, v7
	v_pk_fma_f32 v[40:41], v[248:249], v[46:47], v[4:5] op_sel:[0,0,1] op_sel_hi:[1,1,0]
	v_pk_fma_f32 v[4:5], v[248:249], v[46:47], v[4:5] op_sel:[0,0,1] op_sel_hi:[1,1,0] neg_lo:[0,0,1] neg_hi:[0,0,1]
	v_pk_add_f32 v[6:7], v[24:25], v[60:61]
	v_mov_b32_e32 v41, v5
	v_pk_mul_f32 v[4:5], v[72:73], v[42:43]
	v_pk_add_f32 v[6:7], v[6:7], v[62:63]
	v_pk_fma_f32 v[46:47], v[246:247], v[42:43], v[4:5] op_sel:[0,0,1] op_sel_hi:[1,1,0]
	v_pk_fma_f32 v[4:5], v[246:247], v[42:43], v[4:5] op_sel:[0,0,1] op_sel_hi:[1,1,0] neg_lo:[0,0,1] neg_hi:[0,0,1]
	v_pk_add_f32 v[6:7], v[6:7], v[64:65]
	v_mov_b32_e32 v47, v5
	v_pk_mul_f32 v[4:5], v[74:75], v[50:51]
	v_pk_add_f32 v[6:7], v[6:7], v[66:67]
	v_pk_fma_f32 v[42:43], v[242:243], v[50:51], v[4:5] op_sel:[0,0,1] op_sel_hi:[1,1,0]
	v_pk_fma_f32 v[4:5], v[242:243], v[50:51], v[4:5] op_sel:[0,0,1] op_sel_hi:[1,1,0] neg_lo:[0,0,1] neg_hi:[0,0,1]
	v_pk_mul_f32 v[50:51], v[68:69], v[34:35]
	v_mov_b32_e32 v43, v5
	v_pk_fma_f32 v[68:69], v[240:241], v[34:35], v[50:51] op_sel:[0,0,1] op_sel_hi:[1,1,0]
	v_pk_fma_f32 v[34:35], v[240:241], v[34:35], v[50:51] op_sel:[0,0,1] op_sel_hi:[1,1,0] neg_lo:[0,0,1] neg_hi:[0,0,1]
	v_pk_add_f32 v[4:5], v[38:39], v[76:77]
	v_mov_b32_e32 v69, v35
	v_pk_mul_f32 v[34:35], v[70:71], v[44:45]
	v_accvgpr_read_b32 v70, a94
	v_pk_fma_f32 v[50:51], v[238:239], v[44:45], v[34:35] op_sel:[0,0,1] op_sel_hi:[1,1,0]
	v_pk_fma_f32 v[34:35], v[238:239], v[44:45], v[34:35] op_sel:[0,0,1] op_sel_hi:[1,1,0] neg_lo:[0,0,1] neg_hi:[0,0,1]
	v_accvgpr_read_b32 v71, a95
	v_mov_b32_e32 v51, v35
	v_pk_mul_f32 v[34:35], v[70:71], v[20:21]
	v_accvgpr_read_b32 v72, a96
	v_accvgpr_read_b32 v73, a97
	v_pk_fma_f32 v[44:45], v[236:237], v[20:21], v[34:35] op_sel:[0,0,1] op_sel_hi:[1,1,0]
	v_pk_fma_f32 v[20:21], v[236:237], v[20:21], v[34:35] op_sel:[0,0,1] op_sel_hi:[1,1,0] neg_lo:[0,0,1] neg_hi:[0,0,1]
	v_pk_add_f32 v[80:81], v[68:69], v[50:51] neg_lo:[0,1] neg_hi:[0,1]
	v_mov_b32_e32 v45, v21
	v_pk_mul_f32 v[20:21], v[72:73], v[48:49]
	v_pk_add_f32 v[74:75], v[50:51], v[44:45] neg_lo:[0,1] neg_hi:[0,1]
	v_pk_fma_f32 v[34:35], v[232:233], v[48:49], v[20:21] op_sel:[0,0,1] op_sel_hi:[1,1,0]
	v_pk_fma_f32 v[20:21], v[232:233], v[48:49], v[20:21] op_sel:[0,0,1] op_sel_hi:[1,1,0] neg_lo:[0,0,1] neg_hi:[0,0,1]
	v_pk_add_f32 v[48:49], v[50:51], v[44:45]
	v_mov_b32_e32 v35, v21
	v_pk_add_f32 v[70:71], v[68:69], v[34:35] neg_lo:[0,1] neg_hi:[0,1]
	v_pk_fma_f32 v[48:49], v[48:49], 0.5, v[36:37] op_sel_hi:[1,0,1] neg_lo:[1,0,0] neg_hi:[1,0,0]
	v_pk_mul_f32 v[72:73], v[70:71], s[2:3] op_sel_hi:[1,0]
	v_pk_add_f32 v[82:83], v[34:35], v[44:45] neg_lo:[0,1] neg_hi:[0,1]
	v_pk_add_f32 v[20:21], v[36:37], v[68:69]
	v_pk_mul_f32 v[78:79], v[74:75], s[14:15] op_sel_hi:[1,0]
	v_pk_add_f32 v[80:81], v[80:81], v[82:83]
	v_pk_add_f32 v[82:83], v[48:49], v[72:73] op_sel:[0,1] op_sel_hi:[1,0] neg_lo:[0,1] neg_hi:[0,1]
	v_pk_add_f32 v[48:49], v[48:49], v[72:73] op_sel:[0,1] op_sel_hi:[1,0]
	v_pk_add_f32 v[20:21], v[20:21], v[50:51]
	v_pk_add_f32 v[48:49], v[48:49], v[78:79] op_sel:[0,1] op_sel_hi:[1,0]
	v_pk_add_f32 v[72:73], v[82:83], v[78:79] op_sel:[0,1] op_sel_hi:[1,0] neg_lo:[0,1] neg_hi:[0,1]
	v_pk_add_f32 v[20:21], v[20:21], v[44:45]
	v_mov_b32_e32 v78, v72
	v_mov_b32_e32 v79, v49
	v_pk_add_f32 v[20:21], v[20:21], v[34:35]
	v_pk_fma_f32 v[78:79], v[80:81], s[0:1], v[78:79] op_sel_hi:[1,0,1]
	v_accvgpr_read_b32 v72, a106
	ds_write2_b64 v72, v[20:21], v[78:79] offset1:9
	v_pk_add_f32 v[20:21], v[68:69], v[34:35]
	v_pk_add_f32 v[34:35], v[44:45], v[34:35] neg_lo:[0,1] neg_hi:[0,1]
	v_pk_fma_f32 v[20:21], v[20:21], 0.5, v[36:37] op_sel_hi:[1,0,1] neg_lo:[1,0,0] neg_hi:[1,0,0]
	v_pk_add_f32 v[36:37], v[50:51], v[68:69] neg_lo:[0,1] neg_hi:[0,1]
	v_pk_mul_f32 v[44:45], v[70:71], s[14:15] op_sel_hi:[1,0]
	v_pk_add_f32 v[34:35], v[36:37], v[34:35]
	v_pk_mul_f32 v[36:37], v[74:75], s[2:3] op_sel_hi:[1,0]
	v_mov_b32_e32 v49, v73
	v_pk_add_f32 v[50:51], v[20:21], v[36:37] op_sel:[0,1] op_sel_hi:[1,0]
	v_pk_add_f32 v[20:21], v[20:21], v[36:37] op_sel:[0,1] op_sel_hi:[1,0] neg_lo:[0,1] neg_hi:[0,1]
	v_pk_add_f32 v[36:37], v[50:51], v[44:45] op_sel:[0,1] op_sel_hi:[1,0] neg_lo:[0,1] neg_hi:[0,1]
	v_pk_add_f32 v[20:21], v[20:21], v[44:45] op_sel:[0,1] op_sel_hi:[1,0]
	v_mov_b32_e32 v44, v36
	v_mov_b32_e32 v45, v21
	;; [unrolled: 1-line block ×3, first 2 shown]
	v_pk_fma_f32 v[44:45], v[34:35], s[0:1], v[44:45] op_sel_hi:[1,0,1]
	v_pk_fma_f32 v[20:21], v[34:35], s[0:1], v[20:21] op_sel_hi:[1,0,1]
	ds_write2_b64 v72, v[44:45], v[20:21] offset0:18 offset1:27
	v_pk_fma_f32 v[20:21], v[80:81], s[0:1], v[48:49] op_sel_hi:[1,0,1]
	ds_write_b64 v72, v[20:21] offset:288
	v_pk_add_f32 v[20:21], v[40:41], v[46:47]
	v_pk_add_f32 v[34:35], v[76:77], v[42:43] neg_lo:[0,1] neg_hi:[0,1]
	v_pk_fma_f32 v[20:21], v[20:21], 0.5, v[38:39] op_sel_hi:[1,0,1] neg_lo:[1,0,0] neg_hi:[1,0,0]
	v_pk_mul_f32 v[36:37], v[34:35], s[2:3] op_sel_hi:[1,0]
	v_pk_add_f32 v[44:45], v[40:41], v[46:47] neg_lo:[0,1] neg_hi:[0,1]
	v_pk_add_f32 v[50:51], v[76:77], v[40:41] neg_lo:[0,1] neg_hi:[0,1]
	;; [unrolled: 1-line block ×3, first 2 shown]
	v_pk_mul_f32 v[48:49], v[44:45], s[14:15] op_sel_hi:[1,0]
	v_pk_add_f32 v[50:51], v[50:51], v[68:69]
	v_pk_add_f32 v[68:69], v[20:21], v[36:37] op_sel:[0,1] op_sel_hi:[1,0] neg_lo:[0,1] neg_hi:[0,1]
	v_pk_add_f32 v[20:21], v[20:21], v[36:37] op_sel:[0,1] op_sel_hi:[1,0]
	v_pk_add_f32 v[4:5], v[4:5], v[40:41]
	v_pk_add_f32 v[20:21], v[20:21], v[48:49] op_sel:[0,1] op_sel_hi:[1,0]
	v_pk_add_f32 v[36:37], v[68:69], v[48:49] op_sel:[0,1] op_sel_hi:[1,0] neg_lo:[0,1] neg_hi:[0,1]
	v_pk_add_f32 v[4:5], v[4:5], v[46:47]
	v_mov_b32_e32 v48, v36
	v_mov_b32_e32 v49, v21
	v_pk_add_f32 v[4:5], v[4:5], v[42:43]
	v_pk_fma_f32 v[48:49], v[50:51], s[0:1], v[48:49] op_sel_hi:[1,0,1]
	v_accvgpr_read_b32 v36, a85
	ds_write2_b64 v36, v[4:5], v[48:49] offset1:9
	v_pk_add_f32 v[4:5], v[76:77], v[42:43]
	v_pk_mul_f32 v[34:35], v[34:35], s[14:15] op_sel_hi:[1,0]
	v_pk_fma_f32 v[4:5], v[4:5], 0.5, v[38:39] op_sel_hi:[1,0,1] neg_lo:[1,0,0] neg_hi:[1,0,0]
	v_pk_add_f32 v[38:39], v[40:41], v[76:77] neg_lo:[0,1] neg_hi:[0,1]
	v_pk_add_f32 v[40:41], v[46:47], v[42:43] neg_lo:[0,1] neg_hi:[0,1]
	v_mov_b32_e32 v21, v37
	v_pk_add_f32 v[38:39], v[38:39], v[40:41]
	v_pk_mul_f32 v[40:41], v[44:45], s[2:3] op_sel_hi:[1,0]
	s_nop 0
	v_pk_add_f32 v[42:43], v[4:5], v[40:41] op_sel:[0,1] op_sel_hi:[1,0]
	v_pk_add_f32 v[4:5], v[4:5], v[40:41] op_sel:[0,1] op_sel_hi:[1,0] neg_lo:[0,1] neg_hi:[0,1]
	s_nop 0
	v_pk_add_f32 v[4:5], v[4:5], v[34:35] op_sel:[0,1] op_sel_hi:[1,0]
	v_pk_add_f32 v[34:35], v[42:43], v[34:35] op_sel:[0,1] op_sel_hi:[1,0] neg_lo:[0,1] neg_hi:[0,1]
	v_mov_b32_e32 v41, v5
	v_mov_b32_e32 v40, v34
	;; [unrolled: 1-line block ×3, first 2 shown]
	v_pk_fma_f32 v[40:41], v[38:39], s[0:1], v[40:41] op_sel_hi:[1,0,1]
	v_pk_fma_f32 v[4:5], v[38:39], s[0:1], v[4:5] op_sel_hi:[1,0,1]
	ds_write2_b64 v36, v[40:41], v[4:5] offset0:18 offset1:27
	v_pk_fma_f32 v[4:5], v[50:51], s[0:1], v[20:21] op_sel_hi:[1,0,1]
	ds_write_b64 v36, v[4:5] offset:288
	v_pk_add_f32 v[4:5], v[62:63], v[64:65]
	v_pk_add_f32 v[20:21], v[60:61], v[66:67] neg_lo:[0,1] neg_hi:[0,1]
	v_pk_fma_f32 v[4:5], v[4:5], 0.5, v[24:25] op_sel_hi:[1,0,1] neg_lo:[1,0,0] neg_hi:[1,0,0]
	v_pk_mul_f32 v[34:35], v[20:21], s[2:3] op_sel_hi:[1,0]
	v_pk_add_f32 v[36:37], v[62:63], v[64:65] neg_lo:[0,1] neg_hi:[0,1]
	v_pk_add_f32 v[40:41], v[60:61], v[62:63] neg_lo:[0,1] neg_hi:[0,1]
	;; [unrolled: 1-line block ×3, first 2 shown]
	v_pk_mul_f32 v[38:39], v[36:37], s[14:15] op_sel_hi:[1,0]
	v_pk_add_f32 v[40:41], v[40:41], v[42:43]
	v_pk_add_f32 v[42:43], v[4:5], v[34:35] op_sel:[0,1] op_sel_hi:[1,0] neg_lo:[0,1] neg_hi:[0,1]
	v_pk_add_f32 v[4:5], v[4:5], v[34:35] op_sel:[0,1] op_sel_hi:[1,0]
	v_pk_add_f32 v[34:35], v[42:43], v[38:39] op_sel:[0,1] op_sel_hi:[1,0] neg_lo:[0,1] neg_hi:[0,1]
	v_pk_add_f32 v[4:5], v[4:5], v[38:39] op_sel:[0,1] op_sel_hi:[1,0]
	v_mov_b32_e32 v38, v34
	v_mov_b32_e32 v39, v5
	v_pk_fma_f32 v[38:39], v[40:41], s[0:1], v[38:39] op_sel_hi:[1,0,1]
	v_accvgpr_read_b32 v34, a77
	ds_write2_b64 v34, v[6:7], v[38:39] offset1:9
	v_pk_add_f32 v[6:7], v[60:61], v[66:67]
	v_pk_add_f32 v[38:39], v[64:65], v[66:67] neg_lo:[0,1] neg_hi:[0,1]
	v_pk_fma_f32 v[6:7], v[6:7], 0.5, v[24:25] op_sel_hi:[1,0,1] neg_lo:[1,0,0] neg_hi:[1,0,0]
	v_pk_add_f32 v[24:25], v[62:63], v[60:61] neg_lo:[0,1] neg_hi:[0,1]
	v_pk_mul_f32 v[36:37], v[36:37], s[2:3] op_sel_hi:[1,0]
	v_pk_add_f32 v[24:25], v[24:25], v[38:39]
	v_pk_mul_f32 v[20:21], v[20:21], s[14:15] op_sel_hi:[1,0]
	v_pk_add_f32 v[38:39], v[6:7], v[36:37] op_sel:[0,1] op_sel_hi:[1,0]
	v_pk_add_f32 v[6:7], v[6:7], v[36:37] op_sel:[0,1] op_sel_hi:[1,0] neg_lo:[0,1] neg_hi:[0,1]
	v_mov_b32_e32 v5, v35
	v_pk_add_f32 v[6:7], v[6:7], v[20:21] op_sel:[0,1] op_sel_hi:[1,0]
	v_pk_add_f32 v[20:21], v[38:39], v[20:21] op_sel:[0,1] op_sel_hi:[1,0] neg_lo:[0,1] neg_hi:[0,1]
	v_mov_b32_e32 v37, v7
	v_mov_b32_e32 v36, v20
	;; [unrolled: 1-line block ×3, first 2 shown]
	v_pk_fma_f32 v[36:37], v[24:25], s[0:1], v[36:37] op_sel_hi:[1,0,1]
	v_pk_fma_f32 v[6:7], v[24:25], s[0:1], v[6:7] op_sel_hi:[1,0,1]
	;; [unrolled: 1-line block ×3, first 2 shown]
	ds_write2_b64 v34, v[36:37], v[6:7] offset0:18 offset1:27
	ds_write_b64 v34, v[4:5] offset:288
	v_pk_add_f32 v[4:5], v[54:55], v[56:57]
	v_pk_add_f32 v[6:7], v[52:53], v[22:23] neg_lo:[0,1] neg_hi:[0,1]
	v_pk_fma_f32 v[4:5], v[4:5], 0.5, v[26:27] op_sel_hi:[1,0,1] neg_lo:[1,0,0] neg_hi:[1,0,0]
	v_pk_mul_f32 v[20:21], v[6:7], s[2:3] op_sel_hi:[1,0]
	v_pk_add_f32 v[24:25], v[54:55], v[56:57] neg_lo:[0,1] neg_hi:[0,1]
	v_pk_add_f32 v[36:37], v[52:53], v[54:55] neg_lo:[0,1] neg_hi:[0,1]
	v_pk_add_f32 v[38:39], v[22:23], v[56:57] neg_lo:[0,1] neg_hi:[0,1]
	v_pk_mul_f32 v[34:35], v[24:25], s[14:15] op_sel_hi:[1,0]
	v_pk_add_f32 v[36:37], v[36:37], v[38:39]
	v_pk_add_f32 v[38:39], v[4:5], v[20:21] op_sel:[0,1] op_sel_hi:[1,0] neg_lo:[0,1] neg_hi:[0,1]
	v_pk_add_f32 v[4:5], v[4:5], v[20:21] op_sel:[0,1] op_sel_hi:[1,0]
	v_pk_add_f32 v[20:21], v[38:39], v[34:35] op_sel:[0,1] op_sel_hi:[1,0] neg_lo:[0,1] neg_hi:[0,1]
	v_pk_add_f32 v[4:5], v[4:5], v[34:35] op_sel:[0,1] op_sel_hi:[1,0]
	v_mov_b32_e32 v34, v20
	v_mov_b32_e32 v35, v5
	v_pk_fma_f32 v[34:35], v[36:37], s[0:1], v[34:35] op_sel_hi:[1,0,1]
	v_accvgpr_read_b32 v20, a41
	ds_write2_b64 v20, v[58:59], v[34:35] offset1:9
	v_pk_add_f32 v[34:35], v[52:53], v[22:23]
	v_pk_add_f32 v[22:23], v[56:57], v[22:23] neg_lo:[0,1] neg_hi:[0,1]
	v_pk_fma_f32 v[26:27], v[34:35], 0.5, v[26:27] op_sel_hi:[1,0,1] neg_lo:[1,0,0] neg_hi:[1,0,0]
	v_pk_add_f32 v[34:35], v[54:55], v[52:53] neg_lo:[0,1] neg_hi:[0,1]
	v_pk_mul_f32 v[24:25], v[24:25], s[2:3] op_sel_hi:[1,0]
	v_pk_add_f32 v[22:23], v[34:35], v[22:23]
	v_pk_mul_f32 v[6:7], v[6:7], s[14:15] op_sel_hi:[1,0]
	v_pk_add_f32 v[34:35], v[26:27], v[24:25] op_sel:[0,1] op_sel_hi:[1,0]
	v_pk_add_f32 v[24:25], v[26:27], v[24:25] op_sel:[0,1] op_sel_hi:[1,0] neg_lo:[0,1] neg_hi:[0,1]
	v_mov_b32_e32 v5, v21
	v_pk_add_f32 v[24:25], v[24:25], v[6:7] op_sel:[0,1] op_sel_hi:[1,0]
	v_pk_add_f32 v[6:7], v[34:35], v[6:7] op_sel:[0,1] op_sel_hi:[1,0] neg_lo:[0,1] neg_hi:[0,1]
	v_mov_b32_e32 v27, v25
	v_mov_b32_e32 v26, v6
	;; [unrolled: 1-line block ×3, first 2 shown]
	v_pk_fma_f32 v[26:27], v[22:23], s[0:1], v[26:27] op_sel_hi:[1,0,1]
	v_pk_fma_f32 v[6:7], v[22:23], s[0:1], v[24:25] op_sel_hi:[1,0,1]
	;; [unrolled: 1-line block ×3, first 2 shown]
	ds_write2_b64 v20, v[26:27], v[6:7] offset0:18 offset1:27
	ds_write_b64 v20, v[4:5] offset:288
	ds_write2_b64 v2, v[0:1], v[16:17] offset1:9
	ds_write2_b64 v2, v[18:19], v[28:29] offset0:18 offset1:27
	ds_write_b64 v2, v[30:31] offset:288
	s_waitcnt lgkmcnt(0)
	; wave barrier
	s_waitcnt lgkmcnt(0)
	ds_read2_b64 v[48:51], v214 offset1:63
	ds_read2_b64 v[32:35], v214 offset0:126 offset1:225
	ds_read2_b64 v[52:55], v104 offset0:66 offset1:129
	;; [unrolled: 1-line block ×9, first 2 shown]
	ds_read_b64 v[180:181], v214 offset:11808
	s_and_saveexec_b64 s[0:1], s[4:5]
	s_cbranch_execz .LBB0_27
; %bb.26:
	v_add_u32_e32 v0, 0x500, v214
	ds_read2_b64 v[16:19], v0 offset0:29 offset1:254
	v_add_u32_e32 v0, 0x1380, v214
	ds_read2_b64 v[28:31], v0 offset0:15 offset1:240
	;; [unrolled: 2-line block ×3, first 2 shown]
	ds_read_b64 a[108:109], v214 offset:12312
.LBB0_27:
	s_or_b64 exec, exec, s[0:1]
	v_mov_b32_e32 v0, v113
	s_waitcnt lgkmcnt(7)
	v_pk_mul_f32 v[106:107], v[0:1], v[38:39] op_sel:[0,1] op_sel_hi:[1,0]
	v_pk_mul_f32 v[0:1], v[112:113], v[38:39] op_sel:[0,1] op_sel_hi:[1,0]
	v_accvgpr_read_b32 v227, a113
	v_mov_b32_e32 v0, v1
	v_accvgpr_read_b32 v225, a111
	v_accvgpr_read_b32 v224, a110
	v_pk_fma_f32 v[108:109], v[112:113], v[38:39], v[0:1] op_sel:[0,1,0] op_sel_hi:[1,0,1] neg_lo:[0,0,1] neg_hi:[0,0,1]
	v_mov_b32_e32 v0, v115
	v_accvgpr_read_b32 v226, a112
	v_pk_mul_f32 v[20:21], v[224:225], v[34:35] op_sel_hi:[1,0]
	v_mov_b32_e32 v22, v35
	v_pk_mul_f32 v[104:105], v[112:113], v[38:39]
	s_waitcnt lgkmcnt(6)
	v_pk_mul_f32 v[112:113], v[0:1], v[76:77] op_sel:[0,1] op_sel_hi:[1,0]
	v_pk_mul_f32 v[0:1], v[114:115], v[76:77] op_sel:[0,1] op_sel_hi:[1,0]
	v_accvgpr_read_b32 v231, a117
	v_pk_mul_f32 v[64:65], v[226:227], v[52:53] op_sel_hi:[1,0]
	v_mov_b32_e32 v66, v53
	v_mov_b32_e32 v0, v1
	v_accvgpr_read_b32 v229, a115
	v_accvgpr_read_b32 v228, a114
	v_pk_fma_f32 v[22:23], v[224:225], v[22:23], v[20:21] op_sel:[0,0,1] op_sel_hi:[1,1,0] neg_lo:[0,0,1] neg_hi:[0,0,1]
	v_pk_fma_f32 v[20:21], v[224:225], v[34:35], v[20:21] op_sel:[0,1,1] op_sel_hi:[1,1,0]
	v_pk_mul_f32 v[110:111], v[114:115], v[76:77]
	v_pk_fma_f32 v[76:77], v[114:115], v[76:77], v[0:1] op_sel:[0,1,0] op_sel_hi:[1,0,1] neg_lo:[0,0,1] neg_hi:[0,0,1]
	v_accvgpr_read_b32 v230, a116
	s_waitcnt lgkmcnt(5)
	v_pk_mul_f32 v[114:115], v[228:229], v[70:71] op_sel_hi:[1,0]
	v_mov_b32_e32 v182, v71
	v_mov_b32_e32 v23, v21
	v_pk_fma_f32 v[20:21], v[226:227], v[66:67], v[64:65] op_sel:[0,0,1] op_sel_hi:[1,1,0] neg_lo:[0,0,1] neg_hi:[0,0,1]
	v_pk_fma_f32 v[34:35], v[226:227], v[52:53], v[64:65] op_sel:[0,1,1] op_sel_hi:[1,1,0]
	s_waitcnt lgkmcnt(4)
	v_pk_mul_f32 v[184:185], v[230:231], v[60:61] op_sel_hi:[1,0]
	v_mov_b32_e32 v186, v61
	v_mov_b32_e32 v21, v35
	v_pk_fma_f32 v[34:35], v[228:229], v[182:183], v[114:115] op_sel:[0,0,1] op_sel_hi:[1,1,0] neg_lo:[0,0,1] neg_hi:[0,0,1]
	v_pk_fma_f32 v[52:53], v[228:229], v[70:71], v[114:115] op_sel:[0,1,1] op_sel_hi:[1,1,0]
	v_pk_fma_f32 v[60:61], v[230:231], v[60:61], v[184:185] op_sel:[0,1,1] op_sel_hi:[1,1,0]
	v_mov_b32_e32 v35, v53
	v_pk_fma_f32 v[52:53], v[230:231], v[186:187], v[184:185] op_sel:[0,0,1] op_sel_hi:[1,1,0] neg_lo:[0,0,1] neg_hi:[0,0,1]
	v_mov_b32_e32 v111, v22
	v_mov_b32_e32 v53, v61
	;; [unrolled: 1-line block ×6, first 2 shown]
	v_pk_add_f32 v[60:61], v[22:23], v[52:53]
	v_pk_add_f32 v[64:65], v[22:23], v[52:53] neg_lo:[0,1] neg_hi:[0,1]
	v_pk_add_f32 v[66:67], v[20:21], v[34:35]
	v_pk_add_f32 v[70:71], v[20:21], v[34:35] neg_lo:[0,1] neg_hi:[0,1]
	v_pk_add_f32 v[22:23], v[110:111], v[112:113]
	v_pk_add_f32 v[20:21], v[104:105], v[106:107]
	s_waitcnt lgkmcnt(2)
	v_pk_mul_f32 v[198:199], v[0:1], v[72:73] op_sel:[0,1] op_sel_hi:[1,0]
	v_pk_mul_f32 v[0:1], v[116:117], v[72:73] op_sel:[0,1] op_sel_hi:[1,0]
	v_mov_b32_e32 v77, v22
	v_mov_b32_e32 v109, v20
	;; [unrolled: 1-line block ×3, first 2 shown]
	v_pk_add_f32 v[34:35], v[76:77], v[108:109] neg_lo:[0,1] neg_hi:[0,1]
	v_mov_b32_e32 v110, v67
	v_mov_b32_e32 v111, v108
	;; [unrolled: 1-line block ×4, first 2 shown]
	v_pk_mul_f32 v[196:197], v[116:117], v[72:73]
	v_pk_fma_f32 v[116:117], v[116:117], v[72:73], v[0:1] op_sel:[0,1,0] op_sel_hi:[1,0,1] neg_lo:[0,0,1] neg_hi:[0,0,1]
	v_mov_b32_e32 v0, v119
	v_pk_add_f32 v[76:77], v[110:111], v[108:109]
	v_pk_add_f32 v[108:109], v[20:21], v[22:23]
	v_pk_mul_f32 v[202:203], v[0:1], v[78:79] op_sel:[0,1] op_sel_hi:[1,0]
	v_pk_mul_f32 v[0:1], v[118:119], v[78:79] op_sel:[0,1] op_sel_hi:[1,0]
	v_mov_b32_e32 v52, v34
	v_mov_b32_e32 v53, v65
	;; [unrolled: 1-line block ×4, first 2 shown]
	s_mov_b32 s2, 0x3f08b237
	v_mov_b32_e32 v22, v108
	v_mov_b32_e32 v111, v77
	s_mov_b32 s20, 0x3d64c772
	v_mov_b32_e32 v0, v1
	v_pk_add_f32 v[52:53], v[52:53], v[104:105] neg_lo:[0,1] neg_hi:[0,1]
	s_mov_b32 s3, 0xbeae86e6
	v_mov_b32_e32 v104, v64
	v_mov_b32_e32 v106, v34
	;; [unrolled: 1-line block ×3, first 2 shown]
	v_pk_add_f32 v[110:111], v[22:23], v[110:111] neg_lo:[0,1] neg_hi:[0,1]
	v_mov_b32_e32 v112, v61
	v_mov_b32_e32 v113, v77
	;; [unrolled: 1-line block ×3, first 2 shown]
	v_pk_add_f32 v[76:77], v[76:77], v[108:109]
	s_mov_b32 s21, 0x3f4a47b2
	v_pk_mul_f32 v[200:201], v[118:119], v[78:79]
	v_pk_fma_f32 v[78:79], v[118:119], v[78:79], v[0:1] op_sel:[0,1,0] op_sel_hi:[1,0,1] neg_lo:[0,0,1] neg_hi:[0,0,1]
	v_mov_b32_e32 v0, v121
	v_pk_mul_f32 v[52:53], v[52:53], s[2:3]
	v_pk_add_f32 v[104:105], v[104:105], v[106:107] neg_lo:[0,1] neg_hi:[0,1]
	s_mov_b32 s18, s3
	s_mov_b32 s19, s2
	v_pk_add_f32 v[34:35], v[34:35], v[70:71]
	v_pk_add_f32 v[112:113], v[112:113], v[20:21] neg_lo:[0,1] neg_hi:[0,1]
	v_pk_add_f32 v[48:49], v[48:49], v[76:77]
	s_mov_b32 s24, 0x3f955555
	v_pk_mul_f32 v[108:109], v[110:111], s[20:21]
	s_mov_b32 s22, s21
	s_mov_b32 s23, s20
	v_pk_mul_f32 v[6:7], v[0:1], v[74:75] op_sel:[0,1] op_sel_hi:[1,0]
	v_pk_mul_f32 v[0:1], v[120:121], v[74:75] op_sel:[0,1] op_sel_hi:[1,0]
	v_pk_mul_f32 v[106:107], v[104:105], s[18:19]
	v_pk_add_f32 v[34:35], v[34:35], v[64:65]
	s_mov_b32 s0, 0xbee1c552
	v_pk_mul_f32 v[110:111], v[112:113], s[22:23]
	v_pk_fma_f32 v[76:77], v[76:77], s[24:25], v[48:49] op_sel_hi:[1,0,1] neg_lo:[1,0,0] neg_hi:[1,0,0]
	v_pk_fma_f32 v[112:113], v[112:113], s[22:23], v[108:109]
	v_pk_fma_f32 v[104:105], v[104:105], s[18:19], v[52:53]
	v_mov_b32_e32 v0, v1
	v_pk_add_f32 v[112:113], v[112:113], v[76:77]
	v_pk_fma_f32 v[104:105], v[34:35], s[0:1], v[104:105] op_sel_hi:[1,0,1]
	v_pk_fma_f32 v[0:1], v[120:121], v[74:75], v[0:1] op_sel:[0,1,0] op_sel_hi:[1,0,1] neg_lo:[0,0,1] neg_hi:[0,0,1]
	v_pk_add_f32 v[114:115], v[112:113], v[104:105]
	v_pk_add_f32 v[104:105], v[112:113], v[104:105] neg_lo:[0,1] neg_hi:[0,1]
	v_mov_b32_e32 v112, v114
	v_mov_b32_e32 v113, v105
	v_accvgpr_read_b32 v1, a119
	v_mov_b32_e32 v20, v67
	v_mov_b32_e32 v22, v61
	s_waitcnt lgkmcnt(0)
	; wave barrier
	s_waitcnt lgkmcnt(0)
	ds_write2_b64 v1, v[48:49], v[112:113] offset1:45
	v_pk_add_f32 v[48:49], v[70:71], v[64:65] neg_lo:[0,1] neg_hi:[0,1]
	s_mov_b32 s14, 0xbf5ff5aa
	v_pk_add_f32 v[20:21], v[20:21], v[22:23] neg_lo:[0,1] neg_hi:[0,1]
	s_mov_b32 s16, 0x3f3bfb3b
	v_mov_b32_e32 v22, v110
	v_mov_b32_e32 v23, v109
	;; [unrolled: 1-line block ×6, first 2 shown]
	v_pk_fma_f32 v[22:23], v[20:21], s[16:17], v[22:23] op_sel_hi:[1,0,1] neg_lo:[1,0,1] neg_hi:[1,0,1]
	v_pk_fma_f32 v[60:61], v[48:49], s[14:15], v[60:61] op_sel_hi:[1,0,1] neg_lo:[1,0,1] neg_hi:[1,0,1]
	;; [unrolled: 1-line block ×4, first 2 shown]
	v_accvgpr_read_b32 v223, a101
	v_pk_add_f32 v[22:23], v[22:23], v[76:77]
	v_pk_fma_f32 v[60:61], v[34:35], s[0:1], v[60:61] op_sel_hi:[1,0,1]
	v_pk_add_f32 v[20:21], v[20:21], v[76:77]
	v_pk_fma_f32 v[34:35], v[34:35], s[0:1], v[48:49] op_sel_hi:[1,0,1]
	v_accvgpr_read_b32 v221, a99
	v_accvgpr_read_b32 v220, a98
	v_pk_add_f32 v[64:65], v[22:23], v[60:61]
	v_pk_add_f32 v[22:23], v[22:23], v[60:61] neg_lo:[0,1] neg_hi:[0,1]
	v_pk_add_f32 v[48:49], v[20:21], v[34:35] neg_lo:[0,1] neg_hi:[0,1]
	v_pk_add_f32 v[20:21], v[20:21], v[34:35]
	v_accvgpr_read_b32 v222, a100
	v_pk_mul_f32 v[188:189], v[220:221], v[44:45] op_sel_hi:[1,0]
	v_mov_b32_e32 v190, v45
	v_accvgpr_read_b32 v219, a89
	v_mov_b32_e32 v61, v23
	v_mov_b32_e32 v35, v21
	;; [unrolled: 1-line block ×4, first 2 shown]
	v_pk_mul_f32 v[192:193], v[222:223], v[54:55] op_sel_hi:[1,0]
	v_mov_b32_e32 v194, v55
	v_accvgpr_read_b32 v217, a87
	v_accvgpr_read_b32 v216, a86
	v_mov_b32_e32 v60, v64
	v_mov_b32_e32 v34, v48
	ds_write2_b64 v1, v[20:21], v[22:23] offset0:180 offset1:225
	v_pk_fma_f32 v[20:21], v[220:221], v[190:191], v[188:189] op_sel:[0,0,1] op_sel_hi:[1,1,0] neg_lo:[0,0,1] neg_hi:[0,0,1]
	v_pk_fma_f32 v[22:23], v[220:221], v[44:45], v[188:189] op_sel:[0,1,1] op_sel_hi:[1,1,0]
	v_accvgpr_read_b32 v218, a88
	v_pk_mul_f32 v[118:119], v[216:217], v[40:41] op_sel_hi:[1,0]
	v_mov_b32_e32 v204, v41
	ds_write2_b64 v1, v[60:61], v[34:35] offset0:90 offset1:135
	v_mov_b32_e32 v21, v23
	v_pk_fma_f32 v[22:23], v[222:223], v[194:195], v[192:193] op_sel:[0,0,1] op_sel_hi:[1,1,0] neg_lo:[0,0,1] neg_hi:[0,0,1]
	v_pk_fma_f32 v[34:35], v[222:223], v[54:55], v[192:193] op_sel:[0,1,1] op_sel_hi:[1,1,0]
	v_pk_mul_f32 v[206:207], v[218:219], v[62:63] op_sel_hi:[1,0]
	v_mov_b32_e32 v208, v63
	v_mov_b32_e32 v23, v35
	v_pk_fma_f32 v[34:35], v[216:217], v[204:205], v[118:119] op_sel:[0,0,1] op_sel_hi:[1,1,0] neg_lo:[0,0,1] neg_hi:[0,0,1]
	v_pk_fma_f32 v[40:41], v[216:217], v[40:41], v[118:119] op_sel:[0,1,1] op_sel_hi:[1,1,0]
	v_pk_fma_f32 v[44:45], v[218:219], v[62:63], v[206:207] op_sel:[0,1,1] op_sel_hi:[1,1,0]
	v_mov_b32_e32 v35, v41
	v_pk_fma_f32 v[40:41], v[218:219], v[208:209], v[206:207] op_sel:[0,0,1] op_sel_hi:[1,1,0] neg_lo:[0,0,1] neg_hi:[0,0,1]
	v_mov_b32_e32 v201, v20
	v_mov_b32_e32 v41, v45
	;; [unrolled: 1-line block ×5, first 2 shown]
	v_pk_add_f32 v[44:45], v[20:21], v[40:41]
	v_pk_add_f32 v[48:49], v[20:21], v[40:41] neg_lo:[0,1] neg_hi:[0,1]
	v_pk_add_f32 v[52:53], v[22:23], v[34:35]
	v_pk_add_f32 v[54:55], v[22:23], v[34:35] neg_lo:[0,1] neg_hi:[0,1]
	v_pk_add_f32 v[20:21], v[200:201], v[202:203]
	v_pk_add_f32 v[22:23], v[196:197], v[198:199]
	v_mov_b32_e32 v79, v20
	v_mov_b32_e32 v117, v22
	;; [unrolled: 1-line block ×6, first 2 shown]
	v_pk_add_f32 v[34:35], v[78:79], v[116:117] neg_lo:[0,1] neg_hi:[0,1]
	v_pk_add_f32 v[64:65], v[64:65], v[66:67]
	v_pk_add_f32 v[66:67], v[22:23], v[20:21]
	v_mov_b32_e32 v40, v34
	v_mov_b32_e32 v41, v49
	v_mov_b32_e32 v60, v54
	v_mov_b32_e32 v61, v35
	v_mov_b32_e32 v20, v66
	v_mov_b32_e32 v70, v53
	v_mov_b32_e32 v71, v65
	v_pk_add_f32 v[40:41], v[40:41], v[60:61] neg_lo:[0,1] neg_hi:[0,1]
	v_mov_b32_e32 v60, v48
	v_mov_b32_e32 v62, v34
	;; [unrolled: 1-line block ×3, first 2 shown]
	v_pk_add_f32 v[70:71], v[20:21], v[70:71] neg_lo:[0,1] neg_hi:[0,1]
	v_mov_b32_e32 v76, v45
	v_mov_b32_e32 v77, v65
	;; [unrolled: 1-line block ×3, first 2 shown]
	v_pk_add_f32 v[64:65], v[64:65], v[66:67]
	v_pk_mul_f32 v[40:41], v[40:41], s[2:3]
	v_pk_add_f32 v[60:61], v[60:61], v[62:63] neg_lo:[0,1] neg_hi:[0,1]
	v_pk_add_f32 v[34:35], v[34:35], v[54:55]
	v_pk_add_f32 v[76:77], v[76:77], v[22:23] neg_lo:[0,1] neg_hi:[0,1]
	v_pk_add_f32 v[50:51], v[50:51], v[64:65]
	v_pk_mul_f32 v[66:67], v[70:71], s[20:21]
	v_pk_mul_f32 v[62:63], v[60:61], s[18:19]
	v_pk_add_f32 v[34:35], v[34:35], v[48:49]
	v_pk_mul_f32 v[70:71], v[76:77], s[22:23]
	v_pk_fma_f32 v[64:65], v[64:65], s[24:25], v[50:51] op_sel_hi:[1,0,1] neg_lo:[1,0,0] neg_hi:[1,0,0]
	v_pk_fma_f32 v[76:77], v[76:77], s[22:23], v[66:67]
	v_pk_fma_f32 v[60:61], v[60:61], s[18:19], v[40:41]
	v_mov_b32_e32 v22, v53
	v_mov_b32_e32 v20, v45
	v_pk_add_f32 v[76:77], v[76:77], v[64:65]
	v_pk_fma_f32 v[60:61], v[34:35], s[0:1], v[60:61] op_sel_hi:[1,0,1]
	v_pk_add_f32 v[48:49], v[54:55], v[48:49] neg_lo:[0,1] neg_hi:[0,1]
	v_pk_add_f32 v[20:21], v[22:23], v[20:21] neg_lo:[0,1] neg_hi:[0,1]
	v_mov_b32_e32 v22, v70
	v_mov_b32_e32 v23, v67
	;; [unrolled: 1-line block ×8, first 2 shown]
	v_pk_add_f32 v[78:79], v[76:77], v[60:61]
	v_pk_add_f32 v[60:61], v[76:77], v[60:61] neg_lo:[0,1] neg_hi:[0,1]
	v_pk_fma_f32 v[22:23], v[20:21], s[16:17], v[22:23] op_sel_hi:[1,0,1] neg_lo:[1,0,1] neg_hi:[1,0,1]
	v_pk_fma_f32 v[44:45], v[48:49], s[14:15], v[44:45] op_sel_hi:[1,0,1] neg_lo:[1,0,1] neg_hi:[1,0,1]
	;; [unrolled: 1-line block ×4, first 2 shown]
	v_accvgpr_read_b32 v213, a75
	v_pk_mul_f32 v[10:11], v[2:3], v[68:69] op_sel:[0,1] op_sel_hi:[1,0]
	v_pk_mul_f32 v[2:3], v[122:123], v[68:69] op_sel:[0,1] op_sel_hi:[1,0]
	ds_write_b64 v1, v[104:105] offset:2160
	v_mov_b32_e32 v76, v78
	v_mov_b32_e32 v77, v61
	v_accvgpr_read_b32 v1, a120
	v_pk_add_f32 v[22:23], v[22:23], v[64:65]
	v_pk_fma_f32 v[44:45], v[34:35], s[0:1], v[44:45] op_sel_hi:[1,0,1]
	v_pk_add_f32 v[20:21], v[20:21], v[64:65]
	v_pk_fma_f32 v[34:35], v[34:35], s[0:1], v[40:41] op_sel_hi:[1,0,1]
	v_accvgpr_read_b32 v211, a73
	v_accvgpr_read_b32 v210, a72
	v_mov_b32_e32 v2, v3
	ds_write2_b64 v1, v[50:51], v[76:77] offset1:45
	v_pk_add_f32 v[50:51], v[22:23], v[44:45]
	v_pk_add_f32 v[22:23], v[22:23], v[44:45] neg_lo:[0,1] neg_hi:[0,1]
	v_pk_add_f32 v[40:41], v[20:21], v[34:35] neg_lo:[0,1] neg_hi:[0,1]
	v_pk_add_f32 v[20:21], v[20:21], v[34:35]
	v_accvgpr_read_b32 v212, a74
	v_pk_mul_f32 v[26:27], v[210:211], v[46:47] op_sel_hi:[1,0]
	v_mov_b32_e32 v56, v47
	v_pk_mul_f32 v[4:5], v[120:121], v[74:75]
	v_pk_mul_f32 v[8:9], v[122:123], v[68:69]
	v_pk_fma_f32 v[2:3], v[122:123], v[68:69], v[2:3] op_sel:[0,1,0] op_sel_hi:[1,0,1] neg_lo:[0,0,1] neg_hi:[0,0,1]
	v_accvgpr_read_b32 v123, a81
	v_mov_b32_e32 v45, v23
	v_mov_b32_e32 v35, v21
	;; [unrolled: 1-line block ×4, first 2 shown]
	v_pk_mul_f32 v[24:25], v[212:213], v[36:37] op_sel_hi:[1,0]
	v_mov_b32_e32 v38, v37
	v_accvgpr_read_b32 v121, a79
	v_accvgpr_read_b32 v120, a78
	ds_write2_b64 v1, v[20:21], v[22:23] offset0:180 offset1:225
	v_pk_fma_f32 v[20:21], v[210:211], v[56:57], v[26:27] op_sel:[0,0,1] op_sel_hi:[1,1,0] neg_lo:[0,0,1] neg_hi:[0,0,1]
	v_pk_fma_f32 v[22:23], v[210:211], v[46:47], v[26:27] op_sel:[0,1,1] op_sel_hi:[1,1,0]
	v_accvgpr_read_b32 v122, a80
	v_pk_mul_f32 v[68:69], v[120:121], v[42:43] op_sel_hi:[1,0]
	v_mov_b32_e32 v74, v43
	v_mov_b32_e32 v21, v23
	v_pk_fma_f32 v[22:23], v[212:213], v[38:39], v[24:25] op_sel:[0,0,1] op_sel_hi:[1,1,0] neg_lo:[0,0,1] neg_hi:[0,0,1]
	v_pk_fma_f32 v[24:25], v[212:213], v[36:37], v[24:25] op_sel:[0,1,1] op_sel_hi:[1,1,0]
	v_pk_mul_f32 v[58:59], v[122:123], v[180:181] op_sel_hi:[1,0]
	v_mov_b32_e32 v72, v181
	v_mov_b32_e32 v23, v25
	v_pk_fma_f32 v[24:25], v[120:121], v[74:75], v[68:69] op_sel:[0,0,1] op_sel_hi:[1,1,0] neg_lo:[0,0,1] neg_hi:[0,0,1]
	v_pk_fma_f32 v[26:27], v[120:121], v[42:43], v[68:69] op_sel:[0,1,1] op_sel_hi:[1,1,0]
	v_mov_b32_e32 v44, v50
	v_mov_b32_e32 v34, v40
	;; [unrolled: 1-line block ×3, first 2 shown]
	v_pk_fma_f32 v[26:27], v[122:123], v[72:73], v[58:59] op_sel:[0,0,1] op_sel_hi:[1,1,0] neg_lo:[0,0,1] neg_hi:[0,0,1]
	ds_write2_b64 v1, v[44:45], v[34:35] offset0:90 offset1:135
	v_pk_fma_f32 v[34:35], v[122:123], v[180:181], v[58:59] op_sel:[0,1,1] op_sel_hi:[1,1,0]
	v_mov_b32_e32 v9, v20
	v_mov_b32_e32 v11, v26
	;; [unrolled: 1-line block ×6, first 2 shown]
	v_pk_add_f32 v[8:9], v[8:9], v[10:11]
	v_pk_add_f32 v[4:5], v[4:5], v[6:7]
	ds_write_b64 v1, v[60:61] offset:2160
	v_pk_add_f32 v[34:35], v[20:21], v[26:27]
	v_pk_add_f32 v[38:39], v[22:23], v[24:25]
	v_mov_b32_e32 v3, v8
	v_mov_b32_e32 v1, v4
	v_pk_add_f32 v[40:41], v[22:23], v[24:25] neg_lo:[0,1] neg_hi:[0,1]
	v_pk_add_f32 v[6:7], v[2:3], v[0:1] neg_lo:[0,1] neg_hi:[0,1]
	v_mov_b32_e32 v24, v39
	v_mov_b32_e32 v25, v0
	;; [unrolled: 1-line block ×4, first 2 shown]
	v_pk_add_f32 v[36:37], v[20:21], v[26:27] neg_lo:[0,1] neg_hi:[0,1]
	v_pk_add_f32 v[0:1], v[24:25], v[0:1]
	v_pk_add_f32 v[2:3], v[4:5], v[8:9]
	v_mov_b32_e32 v10, v6
	v_mov_b32_e32 v11, v37
	;; [unrolled: 1-line block ×6, first 2 shown]
	v_pk_add_f32 v[10:11], v[10:11], v[20:21] neg_lo:[0,1] neg_hi:[0,1]
	v_mov_b32_e32 v20, v36
	v_mov_b32_e32 v22, v6
	;; [unrolled: 1-line block ×3, first 2 shown]
	v_pk_add_f32 v[24:25], v[8:9], v[24:25] neg_lo:[0,1] neg_hi:[0,1]
	v_mov_b32_e32 v26, v35
	v_mov_b32_e32 v27, v1
	;; [unrolled: 1-line block ×3, first 2 shown]
	v_pk_add_f32 v[0:1], v[0:1], v[2:3]
	v_pk_mul_f32 v[10:11], v[10:11], s[2:3]
	v_pk_add_f32 v[20:21], v[20:21], v[22:23] neg_lo:[0,1] neg_hi:[0,1]
	v_pk_add_f32 v[6:7], v[6:7], v[40:41]
	v_pk_add_f32 v[26:27], v[26:27], v[4:5] neg_lo:[0,1] neg_hi:[0,1]
	v_pk_add_f32 v[2:3], v[32:33], v[0:1]
	v_pk_mul_f32 v[24:25], v[24:25], s[20:21]
	v_pk_mul_f32 v[22:23], v[20:21], s[18:19]
	v_pk_add_f32 v[6:7], v[6:7], v[36:37]
	v_pk_mul_f32 v[32:33], v[26:27], s[22:23]
	v_pk_fma_f32 v[0:1], v[0:1], s[24:25], v[2:3] op_sel_hi:[1,0,1] neg_lo:[1,0,0] neg_hi:[1,0,0]
	v_pk_fma_f32 v[26:27], v[26:27], s[22:23], v[24:25]
	v_pk_fma_f32 v[20:21], v[20:21], s[18:19], v[10:11]
	v_pk_add_f32 v[26:27], v[26:27], v[0:1]
	v_pk_fma_f32 v[20:21], v[6:7], s[0:1], v[20:21] op_sel_hi:[1,0,1]
	v_mov_b32_e32 v4, v39
	v_pk_add_f32 v[42:43], v[26:27], v[20:21]
	v_pk_add_f32 v[20:21], v[26:27], v[20:21] neg_lo:[0,1] neg_hi:[0,1]
	v_mov_b32_e32 v26, v42
	v_mov_b32_e32 v27, v21
	;; [unrolled: 1-line block ×3, first 2 shown]
	ds_write2_b64 v215, v[2:3], v[26:27] offset1:45
	v_pk_add_f32 v[2:3], v[40:41], v[36:37] neg_lo:[0,1] neg_hi:[0,1]
	v_pk_add_f32 v[4:5], v[4:5], v[8:9] neg_lo:[0,1] neg_hi:[0,1]
	v_mov_b32_e32 v8, v32
	v_mov_b32_e32 v9, v25
	v_mov_b32_e32 v26, v22
	v_mov_b32_e32 v27, v11
	v_mov_b32_e32 v25, v33
	v_mov_b32_e32 v11, v23
	v_pk_fma_f32 v[8:9], v[4:5], s[16:17], v[8:9] op_sel_hi:[1,0,1] neg_lo:[1,0,1] neg_hi:[1,0,1]
	v_pk_fma_f32 v[26:27], v[2:3], s[14:15], v[26:27] op_sel_hi:[1,0,1] neg_lo:[1,0,1] neg_hi:[1,0,1]
	;; [unrolled: 1-line block ×4, first 2 shown]
	v_pk_add_f32 v[8:9], v[8:9], v[0:1]
	v_pk_fma_f32 v[26:27], v[6:7], s[0:1], v[26:27] op_sel_hi:[1,0,1]
	v_pk_add_f32 v[0:1], v[4:5], v[0:1]
	v_pk_fma_f32 v[2:3], v[6:7], s[0:1], v[2:3] op_sel_hi:[1,0,1]
	v_pk_add_f32 v[34:35], v[8:9], v[26:27]
	v_pk_add_f32 v[8:9], v[8:9], v[26:27] neg_lo:[0,1] neg_hi:[0,1]
	v_pk_add_f32 v[4:5], v[0:1], v[2:3] neg_lo:[0,1] neg_hi:[0,1]
	v_pk_add_f32 v[0:1], v[0:1], v[2:3]
	v_mov_b32_e32 v86, v148
	v_mov_b32_e32 v87, v148
	;; [unrolled: 1-line block ×67, first 2 shown]
	ds_write2_b64 v215, v[26:27], v[2:3] offset0:90 offset1:135
	ds_write2_b64 v215, v[0:1], v[8:9] offset0:180 offset1:225
	ds_write_b64 v215, v[20:21] offset:2160
	s_and_saveexec_b64 s[24:25], s[4:5]
	s_cbranch_execz .LBB0_29
; %bb.28:
	v_accvgpr_read_b32 v20, a62
	v_accvgpr_read_b32 v21, a63
	v_mov_b32_e32 v0, v21
	v_mov_b32_e32 v1, v20
	v_accvgpr_read_b32 v22, a64
	v_accvgpr_read_b32 v23, a65
	;; [unrolled: 1-line block ×3, first 2 shown]
	v_pk_mul_f32 v[32:33], v[0:1], v[30:31]
	v_accvgpr_read_b32 v38, a58
	v_accvgpr_read_b32 v6, a108
	v_pk_mul_f32 v[8:9], v[22:23], v[12:13]
	v_accvgpr_read_b32 v43, a67
	v_mov_b32_e32 v22, v31
	v_mov_b32_e32 v32, v33
	v_accvgpr_read_b32 v34, a54
	v_accvgpr_read_b32 v40, a60
	;; [unrolled: 1-line block ×4, first 2 shown]
	v_pk_mul_f32 v[20:21], v[20:21], v[30:31]
	v_pk_mul_f32 v[22:23], v[0:1], v[22:23]
	v_pk_fma_f32 v[0:1], v[0:1], v[30:31], v[32:33] neg_lo:[1,0,0] neg_hi:[1,0,0]
	v_pk_mul_f32 v[30:31], v[42:43], v[12:13]
	v_accvgpr_read_b32 v35, a55
	v_pk_mul_f32 v[4:5], v[40:41], v[6:7] op_sel_hi:[1,0]
	v_mov_b32_e32 v6, v7
	v_mov_b32_e32 v30, v31
	v_accvgpr_read_b32 v7, a31
	v_pk_mul_f32 v[2:3], v[34:35], v[18:19] op_sel_hi:[1,0]
	v_accvgpr_read_b32 v39, a59
	v_mov_b32_e32 v10, v13
	v_pk_fma_f32 v[12:13], v[42:43], v[12:13], v[30:31] neg_lo:[1,0,0] neg_hi:[1,0,0]
	v_pk_fma_f32 v[30:31], v[40:41], v[6:7], v[4:5] op_sel:[0,0,1] op_sel_hi:[1,0,0] neg_lo:[0,0,1] neg_hi:[0,0,1]
	v_pk_fma_f32 v[4:5], v[40:41], v[6:7], v[4:5] op_sel:[0,0,1] op_sel_hi:[1,0,0]
	v_accvgpr_read_b32 v36, a56
	v_accvgpr_read_b32 v37, a57
	v_pk_mul_f32 v[26:27], v[38:39], v[14:15] op_sel_hi:[1,0]
	v_mov_b32_e32 v14, v15
	v_mov_b32_e32 v1, 3
	v_mov_b32_e32 v31, v5
	v_pk_fma_f32 v[4:5], v[34:35], v[18:19], v[2:3] op_sel:[0,1,1] op_sel_hi:[1,1,0] neg_lo:[0,0,1] neg_hi:[0,0,1]
	v_pk_fma_f32 v[2:3], v[34:35], v[18:19], v[2:3] op_sel:[0,1,1] op_sel_hi:[1,1,0]
	v_pk_mul_f32 v[24:25], v[36:37], v[28:29] op_sel_hi:[1,0]
	v_lshlrev_b32_sdwa v32, v1, v7 dst_sel:DWORD dst_unused:UNUSED_PAD src0_sel:DWORD src1_sel:BYTE_0
	v_mov_b32_e32 v5, v3
	v_pk_fma_f32 v[2:3], v[38:39], v[14:15], v[26:27] op_sel:[0,0,1] op_sel_hi:[1,0,0] neg_lo:[0,0,1] neg_hi:[0,0,1]
	v_pk_fma_f32 v[6:7], v[38:39], v[14:15], v[26:27] op_sel:[0,0,1] op_sel_hi:[1,0,0]
	v_pk_mul_f32 v[10:11], v[42:43], v[10:11]
	v_mov_b32_e32 v3, v7
	v_pk_fma_f32 v[6:7], v[36:37], v[28:29], v[24:25] op_sel:[0,1,1] op_sel_hi:[1,1,0] neg_lo:[0,0,1] neg_hi:[0,0,1]
	v_pk_fma_f32 v[14:15], v[36:37], v[28:29], v[24:25] op_sel:[0,1,1] op_sel_hi:[1,1,0]
	v_mov_b32_e32 v9, v30
	v_mov_b32_e32 v7, v15
	;; [unrolled: 1-line block ×5, first 2 shown]
	v_pk_add_f32 v[14:15], v[30:31], v[4:5]
	v_pk_add_f32 v[18:19], v[2:3], v[6:7]
	v_pk_add_f32 v[24:25], v[4:5], v[30:31] neg_lo:[0,1] neg_hi:[0,1]
	v_pk_add_f32 v[26:27], v[6:7], v[2:3] neg_lo:[0,1] neg_hi:[0,1]
	v_pk_add_f32 v[4:5], v[8:9], v[10:11]
	v_pk_add_f32 v[2:3], v[20:21], v[22:23]
	v_mov_b32_e32 v13, v4
	v_mov_b32_e32 v1, v2
	v_pk_add_f32 v[6:7], v[12:13], v[0:1] neg_lo:[0,1] neg_hi:[0,1]
	v_mov_b32_e32 v23, v25
	v_mov_b32_e32 v10, v6
	v_pk_add_f32 v[20:21], v[6:7], v[26:27]
	v_mov_b32_e32 v22, v6
	v_mov_b32_e32 v6, v26
	;; [unrolled: 1-line block ×3, first 2 shown]
	v_pk_add_f32 v[6:7], v[22:23], v[6:7] neg_lo:[0,1] neg_hi:[0,1]
	v_mov_b32_e32 v22, v19
	v_mov_b32_e32 v23, v0
	;; [unrolled: 1-line block ×4, first 2 shown]
	v_pk_add_f32 v[0:1], v[22:23], v[0:1]
	v_pk_add_f32 v[12:13], v[2:3], v[4:5]
	v_mov_b32_e32 v8, v24
	v_pk_add_f32 v[22:23], v[0:1], v[12:13]
	v_mov_b32_e32 v0, v15
	v_mov_b32_e32 v13, v3
	v_pk_add_f32 v[28:29], v[0:1], v[12:13] neg_lo:[0,1] neg_hi:[0,1]
	v_mov_b32_e32 v13, v5
	v_mov_b32_e32 v0, v19
	;; [unrolled: 1-line block ×3, first 2 shown]
	v_pk_add_f32 v[0:1], v[12:13], v[0:1] neg_lo:[0,1] neg_hi:[0,1]
	v_pk_add_f32 v[8:9], v[8:9], v[10:11] neg_lo:[0,1] neg_hi:[0,1]
	v_pk_mul_f32 v[6:7], v[6:7], s[2:3]
	v_pk_add_f32 v[16:17], v[16:17], v[22:23]
	v_pk_mul_f32 v[0:1], v[0:1], s[20:21]
	s_mov_b32 s2, 0xbf955555
	v_pk_mul_f32 v[10:11], v[8:9], s[18:19]
	v_pk_add_f32 v[20:21], v[20:21], v[24:25]
	v_pk_fma_f32 v[8:9], v[8:9], s[18:19], v[6:7]
	v_pk_fma_f32 v[12:13], v[28:29], s[22:23], v[0:1]
	v_pk_fma_f32 v[22:23], v[22:23], s[2:3], v[16:17] op_sel_hi:[1,0,1]
	v_pk_fma_f32 v[8:9], v[20:21], s[0:1], v[8:9] op_sel_hi:[1,0,1]
	v_pk_add_f32 v[12:13], v[12:13], v[22:23]
	v_pk_mul_f32 v[30:31], v[28:29], s[22:23]
	v_pk_add_f32 v[28:29], v[12:13], v[8:9]
	v_pk_add_f32 v[8:9], v[12:13], v[8:9] neg_lo:[0,1] neg_hi:[0,1]
	v_mov_b32_e32 v12, v28
	v_mov_b32_e32 v13, v9
	v_add_u32_e32 v2, 0x2400, v32
	ds_write2_b64 v2, v[16:17], v[12:13] offset0:108 offset1:153
	v_mov_b32_e32 v2, v19
	v_mov_b32_e32 v4, v15
	v_pk_add_f32 v[12:13], v[26:27], v[24:25] neg_lo:[0,1] neg_hi:[0,1]
	v_mov_b32_e32 v16, v10
	v_mov_b32_e32 v17, v7
	v_pk_add_f32 v[2:3], v[2:3], v[4:5] neg_lo:[0,1] neg_hi:[0,1]
	v_mov_b32_e32 v4, v30
	v_mov_b32_e32 v5, v1
	v_mov_b32_e32 v7, v11
	v_mov_b32_e32 v1, v31
	v_pk_fma_f32 v[16:17], v[12:13], s[14:15], v[16:17] op_sel_hi:[1,0,1] neg_lo:[1,0,1] neg_hi:[1,0,1]
	v_pk_fma_f32 v[4:5], v[2:3], s[16:17], v[4:5] op_sel_hi:[1,0,1] neg_lo:[1,0,1] neg_hi:[1,0,1]
	;; [unrolled: 1-line block ×4, first 2 shown]
	v_pk_fma_f32 v[16:17], v[20:21], s[0:1], v[16:17] op_sel_hi:[1,0,1]
	v_pk_add_f32 v[4:5], v[4:5], v[22:23]
	v_pk_fma_f32 v[6:7], v[20:21], s[0:1], v[6:7] op_sel_hi:[1,0,1]
	v_pk_add_f32 v[0:1], v[0:1], v[22:23]
	v_pk_add_f32 v[14:15], v[4:5], v[16:17]
	v_pk_add_f32 v[4:5], v[4:5], v[16:17] neg_lo:[0,1] neg_hi:[0,1]
	v_pk_add_f32 v[2:3], v[0:1], v[6:7] neg_lo:[0,1] neg_hi:[0,1]
	v_pk_add_f32 v[0:1], v[0:1], v[6:7]
	v_mov_b32_e32 v16, v14
	v_mov_b32_e32 v17, v5
	;; [unrolled: 1-line block ×4, first 2 shown]
	v_add_u32_e32 v2, 0x2800, v32
	v_mov_b32_e32 v1, v3
	v_mov_b32_e32 v5, v15
	;; [unrolled: 1-line block ×3, first 2 shown]
	ds_write2_b64 v2, v[16:17], v[6:7] offset0:70 offset1:115
	ds_write2_b64 v2, v[0:1], v[4:5] offset0:160 offset1:205
	ds_write_b64 v32, v[8:9] offset:12240
.LBB0_29:
	s_or_b64 exec, exec, s[24:25]
	v_add_u32_e32 v10, 0x400, v214
	s_waitcnt lgkmcnt(0)
	; wave barrier
	s_waitcnt lgkmcnt(0)
	ds_read2_b64 v[0:3], v10 offset0:124 offset1:187
	v_add_u32_e32 v11, 0x1000, v214
	ds_read2_b64 v[16:19], v11 offset0:118 offset1:181
	v_accvgpr_read_b32 v104, a40
	v_add_u32_e32 v9, 0x1800, v214
	v_mad_u64_u32 v[6:7], s[0:1], s10, v104, 0
	ds_read2_b64 v[20:23], v9 offset0:114 offset1:177
	v_mov_b32_e32 v8, v7
	v_add_u32_e32 v7, 0x2400, v214
	s_waitcnt lgkmcnt(2)
	v_pk_mul_f32 v[28:29], v[160:161], v[2:3]
	ds_read2_b64 v[24:27], v7 offset0:108 offset1:171
	v_pk_fma_f32 v[36:37], v[178:179], v[2:3], v[28:29] op_sel:[0,0,1] op_sel_hi:[1,1,0]
	v_pk_fma_f32 v[2:3], v[178:179], v[2:3], v[28:29] op_sel:[0,0,1] op_sel_hi:[1,1,0] neg_lo:[0,0,1] neg_hi:[0,0,1]
	ds_read2_b64 v[12:15], v214 offset1:63
	v_mov_b32_e32 v37, v3
	s_waitcnt lgkmcnt(3)
	v_pk_mul_f32 v[2:3], v[162:163], v[16:17]
	v_add_u32_e32 v7, 0x1c00, v214
	v_pk_fma_f32 v[38:39], v[176:177], v[16:17], v[2:3] op_sel:[0,0,1] op_sel_hi:[1,1,0]
	v_pk_fma_f32 v[2:3], v[176:177], v[16:17], v[2:3] op_sel:[0,0,1] op_sel_hi:[1,1,0] neg_lo:[0,0,1] neg_hi:[0,0,1]
	ds_read2_b64 v[28:31], v7 offset0:112 offset1:175
	v_mov_b32_e32 v39, v3
	s_waitcnt lgkmcnt(3)
	v_pk_mul_f32 v[2:3], v[156:157], v[22:23]
	s_mov_b32 s2, 0x3f737871
	v_pk_fma_f32 v[40:41], v[174:175], v[22:23], v[2:3] op_sel:[0,0,1] op_sel_hi:[1,1,0]
	v_pk_fma_f32 v[2:3], v[174:175], v[22:23], v[2:3] op_sel:[0,0,1] op_sel_hi:[1,1,0] neg_lo:[0,0,1] neg_hi:[0,0,1]
	s_mov_b32 s4, 0x3f167918
	v_mov_b32_e32 v41, v3
	s_waitcnt lgkmcnt(2)
	v_pk_mul_f32 v[2:3], v[158:159], v[24:25]
	v_pk_add_f32 v[76:77], v[38:39], v[40:41] neg_lo:[0,1] neg_hi:[0,1]
	v_pk_fma_f32 v[42:43], v[172:173], v[24:25], v[2:3] op_sel:[0,0,1] op_sel_hi:[1,1,0]
	v_pk_fma_f32 v[2:3], v[172:173], v[24:25], v[2:3] op_sel:[0,0,1] op_sel_hi:[1,1,0] neg_lo:[0,0,1] neg_hi:[0,0,1]
	v_pk_mul_f32 v[78:79], v[76:77], s[4:5] op_sel_hi:[1,0]
	v_mov_b32_e32 v43, v3
	s_waitcnt lgkmcnt(1)
	v_pk_add_f32 v[2:3], v[12:13], v[36:37]
	v_pk_add_f32 v[72:73], v[36:37], v[42:43] neg_lo:[0,1] neg_hi:[0,1]
	v_pk_add_f32 v[16:17], v[2:3], v[38:39]
	v_add_u32_e32 v3, 0x800, v214
	ds_read2_b64 v[22:25], v3 offset0:122 offset1:185
	v_pk_add_f32 v[16:17], v[16:17], v[40:41]
	v_add_u32_e32 v2, 0x1400, v214
	v_pk_add_f32 v[44:45], v[16:17], v[42:43]
	v_pk_mul_f32 v[74:75], v[72:73], s[2:3] op_sel_hi:[1,0]
	s_waitcnt lgkmcnt(0)
	v_pk_mul_f32 v[16:17], v[152:153], v[22:23]
	s_mov_b32 s0, 0x3e9e377a
	v_pk_fma_f32 v[46:47], v[170:171], v[22:23], v[16:17] op_sel:[0,0,1] op_sel_hi:[1,1,0]
	v_pk_fma_f32 v[16:17], v[170:171], v[22:23], v[16:17] op_sel:[0,0,1] op_sel_hi:[1,1,0] neg_lo:[0,0,1] neg_hi:[0,0,1]
	v_pk_mul_f32 v[22:23], v[140:141], v[24:25]
	v_mov_b32_e32 v47, v17
	v_pk_mul_f32 v[16:17], v[154:155], v[18:19]
	v_pk_fma_f32 v[56:57], v[102:103], v[24:25], v[22:23] op_sel:[0,0,1] op_sel_hi:[1,1,0]
	v_pk_fma_f32 v[48:49], v[168:169], v[18:19], v[16:17] op_sel:[0,0,1] op_sel_hi:[1,1,0]
	v_pk_fma_f32 v[16:17], v[168:169], v[18:19], v[16:17] op_sel:[0,0,1] op_sel_hi:[1,1,0] neg_lo:[0,0,1] neg_hi:[0,0,1]
	v_pk_fma_f32 v[22:23], v[102:103], v[24:25], v[22:23] op_sel:[0,0,1] op_sel_hi:[1,1,0] neg_lo:[0,0,1] neg_hi:[0,0,1]
	v_mov_b32_e32 v49, v17
	v_pk_mul_f32 v[16:17], v[144:145], v[28:29]
	v_mov_b32_e32 v57, v23
	v_pk_fma_f32 v[50:51], v[166:167], v[28:29], v[16:17] op_sel:[0,0,1] op_sel_hi:[1,1,0]
	v_pk_fma_f32 v[16:17], v[166:167], v[28:29], v[16:17] op_sel:[0,0,1] op_sel_hi:[1,1,0] neg_lo:[0,0,1] neg_hi:[0,0,1]
	v_mov_b32_e32 v4, s12
	v_mov_b32_e32 v51, v17
	v_pk_mul_f32 v[16:17], v[146:147], v[26:27]
	v_mov_b32_e32 v5, s13
	v_pk_fma_f32 v[52:53], v[164:165], v[26:27], v[16:17] op_sel:[0,0,1] op_sel_hi:[1,1,0]
	v_pk_fma_f32 v[16:17], v[164:165], v[26:27], v[16:17] op_sel:[0,0,1] op_sel_hi:[1,1,0] neg_lo:[0,0,1] neg_hi:[0,0,1]
	ds_read2_b64 v[26:29], v2 offset0:116 offset1:179
	v_mov_b32_e32 v53, v17
	v_pk_add_f32 v[16:17], v[14:15], v[46:47]
	v_add_u32_e32 v2, 0x2800, v214
	v_pk_add_f32 v[16:17], v[16:17], v[48:49]
	ds_read2_b64 v[32:35], v2 offset0:106 offset1:169
	v_pk_add_f32 v[16:17], v[16:17], v[50:51]
	s_waitcnt lgkmcnt(1)
	v_pk_mul_f32 v[22:23], v[142:143], v[26:27]
	v_pk_add_f32 v[54:55], v[16:17], v[52:53]
	ds_read2_b64 v[16:19], v214 offset0:126 offset1:189
	v_pk_fma_f32 v[58:59], v[100:101], v[26:27], v[22:23] op_sel:[0,0,1] op_sel_hi:[1,1,0]
	v_pk_fma_f32 v[22:23], v[100:101], v[26:27], v[22:23] op_sel:[0,0,1] op_sel_hi:[1,1,0] neg_lo:[0,0,1] neg_hi:[0,0,1]
	s_movk_i32 s10, 0x2000
	v_mov_b32_e32 v59, v23
	v_pk_mul_f32 v[22:23], v[132:133], v[30:31]
	s_nop 0
	v_pk_fma_f32 v[26:27], v[98:99], v[30:31], v[22:23] op_sel:[0,0,1] op_sel_hi:[1,1,0]
	v_pk_fma_f32 v[22:23], v[98:99], v[30:31], v[22:23] op_sel:[0,0,1] op_sel_hi:[1,1,0] neg_lo:[0,0,1] neg_hi:[0,0,1]
	s_nop 0
	v_mov_b32_e32 v27, v23
	s_waitcnt lgkmcnt(1)
	v_pk_mul_f32 v[22:23], v[134:135], v[32:33]
	s_nop 0
	v_pk_fma_f32 v[60:61], v[96:97], v[32:33], v[22:23] op_sel:[0,0,1] op_sel_hi:[1,1,0]
	v_pk_fma_f32 v[22:23], v[96:97], v[32:33], v[22:23] op_sel:[0,0,1] op_sel_hi:[1,1,0] neg_lo:[0,0,1] neg_hi:[0,0,1]
	v_add_u32_e32 v96, 0xc00, v214
	v_mov_b32_e32 v61, v23
	s_waitcnt lgkmcnt(0)
	v_pk_add_f32 v[22:23], v[16:17], v[56:57]
	v_add_u32_e32 v97, 0x2000, v214
	v_pk_add_f32 v[30:31], v[22:23], v[58:59]
	ds_read2_b64 v[22:25], v96 offset0:120 offset1:183
	v_pk_add_f32 v[30:31], v[30:31], v[26:27]
	s_waitcnt lgkmcnt(0)
	v_pk_mul_f32 v[64:65], v[128:129], v[22:23]
	v_pk_add_f32 v[62:63], v[30:31], v[60:61]
	ds_read2_b64 v[30:33], v97 offset0:110 offset1:173
	v_pk_fma_f32 v[66:67], v[94:95], v[22:23], v[64:65] op_sel:[0,0,1] op_sel_hi:[1,1,0]
	v_pk_fma_f32 v[22:23], v[94:95], v[22:23], v[64:65] op_sel:[0,0,1] op_sel_hi:[1,1,0] neg_lo:[0,0,1] neg_hi:[0,0,1]
	v_pk_mul_f32 v[68:69], v[148:149], v[24:25]
	v_mov_b32_e32 v67, v23
	v_pk_mul_f32 v[22:23], v[130:131], v[28:29]
	v_pk_fma_f32 v[70:71], v[86:87], v[24:25], v[68:69] op_sel:[0,0,1] op_sel_hi:[1,1,0]
	v_pk_fma_f32 v[64:65], v[92:93], v[28:29], v[22:23] op_sel:[0,0,1] op_sel_hi:[1,1,0]
	v_pk_fma_f32 v[22:23], v[92:93], v[28:29], v[22:23] op_sel:[0,0,1] op_sel_hi:[1,1,0] neg_lo:[0,0,1] neg_hi:[0,0,1]
	v_pk_fma_f32 v[24:25], v[86:87], v[24:25], v[68:69] op_sel:[0,0,1] op_sel_hi:[1,1,0] neg_lo:[0,0,1] neg_hi:[0,0,1]
	v_mov_b32_e32 v65, v23
	s_waitcnt lgkmcnt(0)
	v_pk_mul_f32 v[22:23], v[124:125], v[30:31]
	v_mov_b32_e32 v71, v25
	v_pk_fma_f32 v[28:29], v[90:91], v[30:31], v[22:23] op_sel:[0,0,1] op_sel_hi:[1,1,0]
	v_pk_fma_f32 v[22:23], v[90:91], v[30:31], v[22:23] op_sel:[0,0,1] op_sel_hi:[1,1,0] neg_lo:[0,0,1] neg_hi:[0,0,1]
	v_pk_mul_f32 v[24:25], v[150:151], v[20:21]
	v_mov_b32_e32 v29, v23
	v_pk_mul_f32 v[22:23], v[126:127], v[34:35]
	v_pk_fma_f32 v[68:69], v[84:85], v[20:21], v[24:25] op_sel:[0,0,1] op_sel_hi:[1,1,0]
	v_pk_fma_f32 v[30:31], v[88:89], v[34:35], v[22:23] op_sel:[0,0,1] op_sel_hi:[1,1,0]
	v_pk_fma_f32 v[22:23], v[88:89], v[34:35], v[22:23] op_sel:[0,0,1] op_sel_hi:[1,1,0] neg_lo:[0,0,1] neg_hi:[0,0,1]
	ds_read_b64 v[34:35], v214 offset:12096
	v_pk_fma_f32 v[20:21], v[84:85], v[20:21], v[24:25] op_sel:[0,0,1] op_sel_hi:[1,1,0] neg_lo:[0,0,1] neg_hi:[0,0,1]
	v_mov_b32_e32 v31, v23
	v_mov_b32_e32 v69, v21
	v_pk_mul_f32 v[20:21], v[136:137], v[32:33]
	v_pk_add_f32 v[22:23], v[18:19], v[66:67]
	v_pk_fma_f32 v[24:25], v[82:83], v[32:33], v[20:21] op_sel:[0,0,1] op_sel_hi:[1,1,0]
	v_pk_fma_f32 v[20:21], v[82:83], v[32:33], v[20:21] op_sel:[0,0,1] op_sel_hi:[1,1,0] neg_lo:[0,0,1] neg_hi:[0,0,1]
	v_pk_add_f32 v[82:83], v[42:43], v[40:41] neg_lo:[0,1] neg_hi:[0,1]
	v_mov_b32_e32 v25, v21
	s_waitcnt lgkmcnt(0)
	v_pk_mul_f32 v[20:21], v[138:139], v[34:35]
	v_pk_add_f32 v[22:23], v[22:23], v[64:65]
	v_pk_fma_f32 v[32:33], v[80:81], v[34:35], v[20:21] op_sel:[0,0,1] op_sel_hi:[1,1,0]
	v_pk_fma_f32 v[20:21], v[80:81], v[34:35], v[20:21] op_sel:[0,0,1] op_sel_hi:[1,1,0] neg_lo:[0,0,1] neg_hi:[0,0,1]
	v_pk_add_f32 v[34:35], v[38:39], v[40:41]
	v_pk_add_f32 v[80:81], v[36:37], v[38:39] neg_lo:[0,1] neg_hi:[0,1]
	v_pk_fma_f32 v[34:35], v[34:35], 0.5, v[12:13] op_sel_hi:[1,0,1] neg_lo:[1,0,0] neg_hi:[1,0,0]
	v_pk_add_f32 v[80:81], v[80:81], v[82:83]
	v_pk_add_f32 v[82:83], v[34:35], v[74:75] op_sel:[0,1] op_sel_hi:[1,0] neg_lo:[0,1] neg_hi:[0,1]
	v_pk_add_f32 v[34:35], v[34:35], v[74:75] op_sel:[0,1] op_sel_hi:[1,0]
	v_pk_add_f32 v[74:75], v[82:83], v[78:79] op_sel:[0,1] op_sel_hi:[1,0] neg_lo:[0,1] neg_hi:[0,1]
	v_pk_add_f32 v[34:35], v[34:35], v[78:79] op_sel:[0,1] op_sel_hi:[1,0]
	v_mov_b32_e32 v78, v74
	v_mov_b32_e32 v79, v35
	;; [unrolled: 1-line block ×3, first 2 shown]
	v_pk_fma_f32 v[34:35], v[80:81], s[0:1], v[34:35] op_sel_hi:[1,0,1]
	ds_write_b64 v214, v[34:35] offset:10080
	v_pk_add_f32 v[34:35], v[36:37], v[42:43]
	v_pk_fma_f32 v[78:79], v[80:81], s[0:1], v[78:79] op_sel_hi:[1,0,1]
	v_pk_fma_f32 v[12:13], v[34:35], 0.5, v[12:13] op_sel_hi:[1,0,1] neg_lo:[1,0,0] neg_hi:[1,0,0]
	v_pk_add_f32 v[34:35], v[38:39], v[36:37] neg_lo:[0,1] neg_hi:[0,1]
	v_pk_add_f32 v[36:37], v[40:41], v[42:43] neg_lo:[0,1] neg_hi:[0,1]
	v_pk_mul_f32 v[38:39], v[72:73], s[4:5] op_sel_hi:[1,0]
	v_pk_add_f32 v[34:35], v[34:35], v[36:37]
	v_pk_mul_f32 v[36:37], v[76:77], s[2:3] op_sel_hi:[1,0]
	v_pk_add_f32 v[42:43], v[46:47], v[48:49] neg_lo:[0,1] neg_hi:[0,1]
	v_pk_add_f32 v[40:41], v[12:13], v[36:37] op_sel:[0,1] op_sel_hi:[1,0]
	v_pk_add_f32 v[12:13], v[12:13], v[36:37] op_sel:[0,1] op_sel_hi:[1,0] neg_lo:[0,1] neg_hi:[0,1]
	v_pk_add_f32 v[36:37], v[40:41], v[38:39] op_sel:[0,1] op_sel_hi:[1,0] neg_lo:[0,1] neg_hi:[0,1]
	v_pk_add_f32 v[12:13], v[12:13], v[38:39] op_sel:[0,1] op_sel_hi:[1,0]
	v_mov_b32_e32 v38, v36
	v_mov_b32_e32 v39, v13
	;; [unrolled: 1-line block ×3, first 2 shown]
	v_pk_fma_f32 v[38:39], v[34:35], s[0:1], v[38:39] op_sel_hi:[1,0,1]
	v_pk_fma_f32 v[12:13], v[34:35], s[0:1], v[12:13] op_sel_hi:[1,0,1]
	ds_write_b64 v214, v[38:39] offset:5040
	ds_write_b64 v214, v[12:13] offset:7560
	;; [unrolled: 1-line block ×3, first 2 shown]
	ds_write2_b64 v214, v[44:45], v[54:55] offset1:63
	v_pk_add_f32 v[12:13], v[48:49], v[50:51]
	v_pk_add_f32 v[34:35], v[46:47], v[52:53] neg_lo:[0,1] neg_hi:[0,1]
	v_pk_fma_f32 v[12:13], v[12:13], 0.5, v[14:15] op_sel_hi:[1,0,1] neg_lo:[1,0,0] neg_hi:[1,0,0]
	v_pk_mul_f32 v[36:37], v[34:35], s[2:3] op_sel_hi:[1,0]
	v_pk_add_f32 v[38:39], v[48:49], v[50:51] neg_lo:[0,1] neg_hi:[0,1]
	v_pk_add_f32 v[44:45], v[52:53], v[50:51] neg_lo:[0,1] neg_hi:[0,1]
	v_pk_mul_f32 v[40:41], v[38:39], s[4:5] op_sel_hi:[1,0]
	v_pk_add_f32 v[42:43], v[42:43], v[44:45]
	v_pk_add_f32 v[44:45], v[12:13], v[36:37] op_sel:[0,1] op_sel_hi:[1,0] neg_lo:[0,1] neg_hi:[0,1]
	v_pk_add_f32 v[12:13], v[12:13], v[36:37] op_sel:[0,1] op_sel_hi:[1,0]
	v_pk_add_f32 v[36:37], v[44:45], v[40:41] op_sel:[0,1] op_sel_hi:[1,0] neg_lo:[0,1] neg_hi:[0,1]
	v_pk_add_f32 v[12:13], v[12:13], v[40:41] op_sel:[0,1] op_sel_hi:[1,0]
	v_mov_b32_e32 v40, v36
	v_mov_b32_e32 v41, v13
	;; [unrolled: 1-line block ×3, first 2 shown]
	v_pk_add_f32 v[36:37], v[46:47], v[52:53]
	v_pk_fma_f32 v[40:41], v[42:43], s[0:1], v[40:41] op_sel_hi:[1,0,1]
	v_pk_fma_f32 v[12:13], v[42:43], s[0:1], v[12:13] op_sel_hi:[1,0,1]
	v_pk_fma_f32 v[14:15], v[36:37], 0.5, v[14:15] op_sel_hi:[1,0,1] neg_lo:[1,0,0] neg_hi:[1,0,0]
	v_pk_add_f32 v[36:37], v[48:49], v[46:47] neg_lo:[0,1] neg_hi:[0,1]
	v_pk_add_f32 v[42:43], v[50:51], v[52:53] neg_lo:[0,1] neg_hi:[0,1]
	v_pk_mul_f32 v[38:39], v[38:39], s[2:3] op_sel_hi:[1,0]
	v_pk_add_f32 v[36:37], v[36:37], v[42:43]
	v_pk_mul_f32 v[34:35], v[34:35], s[4:5] op_sel_hi:[1,0]
	v_pk_add_f32 v[42:43], v[14:15], v[38:39] op_sel:[0,1] op_sel_hi:[1,0]
	v_pk_add_f32 v[14:15], v[14:15], v[38:39] op_sel:[0,1] op_sel_hi:[1,0] neg_lo:[0,1] neg_hi:[0,1]
	v_pk_add_f32 v[44:45], v[58:59], v[26:27] neg_lo:[0,1] neg_hi:[0,1]
	v_pk_add_f32 v[14:15], v[14:15], v[34:35] op_sel:[0,1] op_sel_hi:[1,0]
	v_pk_add_f32 v[34:35], v[42:43], v[34:35] op_sel:[0,1] op_sel_hi:[1,0] neg_lo:[0,1] neg_hi:[0,1]
	v_mov_b32_e32 v39, v15
	v_mov_b32_e32 v38, v34
	;; [unrolled: 1-line block ×3, first 2 shown]
	v_pk_fma_f32 v[38:39], v[36:37], s[0:1], v[38:39] op_sel_hi:[1,0,1]
	v_pk_fma_f32 v[14:15], v[36:37], s[0:1], v[14:15] op_sel_hi:[1,0,1]
	v_pk_add_f32 v[34:35], v[58:59], v[26:27]
	v_pk_add_f32 v[36:37], v[56:57], v[60:61] neg_lo:[0,1] neg_hi:[0,1]
	v_pk_fma_f32 v[34:35], v[34:35], 0.5, v[16:17] op_sel_hi:[1,0,1] neg_lo:[1,0,0] neg_hi:[1,0,0]
	v_pk_mul_f32 v[42:43], v[36:37], s[2:3] op_sel_hi:[1,0]
	v_pk_add_f32 v[48:49], v[56:57], v[58:59] neg_lo:[0,1] neg_hi:[0,1]
	v_pk_add_f32 v[50:51], v[60:61], v[26:27] neg_lo:[0,1] neg_hi:[0,1]
	v_pk_mul_f32 v[46:47], v[44:45], s[4:5] op_sel_hi:[1,0]
	v_pk_add_f32 v[48:49], v[48:49], v[50:51]
	v_pk_add_f32 v[50:51], v[34:35], v[42:43] op_sel:[0,1] op_sel_hi:[1,0] neg_lo:[0,1] neg_hi:[0,1]
	v_pk_add_f32 v[34:35], v[34:35], v[42:43] op_sel:[0,1] op_sel_hi:[1,0]
	v_pk_add_f32 v[42:43], v[50:51], v[46:47] op_sel:[0,1] op_sel_hi:[1,0] neg_lo:[0,1] neg_hi:[0,1]
	v_pk_add_f32 v[50:51], v[56:57], v[60:61]
	v_pk_add_f32 v[26:27], v[26:27], v[60:61] neg_lo:[0,1] neg_hi:[0,1]
	v_pk_fma_f32 v[16:17], v[50:51], 0.5, v[16:17] op_sel_hi:[1,0,1] neg_lo:[1,0,0] neg_hi:[1,0,0]
	v_pk_add_f32 v[50:51], v[58:59], v[56:57] neg_lo:[0,1] neg_hi:[0,1]
	v_pk_mul_f32 v[44:45], v[44:45], s[2:3] op_sel_hi:[1,0]
	v_pk_add_f32 v[26:27], v[50:51], v[26:27]
	v_pk_mul_f32 v[36:37], v[36:37], s[4:5] op_sel_hi:[1,0]
	v_pk_add_f32 v[50:51], v[16:17], v[44:45] op_sel:[0,1] op_sel_hi:[1,0]
	v_pk_add_f32 v[16:17], v[16:17], v[44:45] op_sel:[0,1] op_sel_hi:[1,0] neg_lo:[0,1] neg_hi:[0,1]
	v_pk_add_f32 v[34:35], v[34:35], v[46:47] op_sel:[0,1] op_sel_hi:[1,0]
	v_pk_add_f32 v[16:17], v[16:17], v[36:37] op_sel:[0,1] op_sel_hi:[1,0]
	v_pk_add_f32 v[36:37], v[50:51], v[36:37] op_sel:[0,1] op_sel_hi:[1,0] neg_lo:[0,1] neg_hi:[0,1]
	v_mov_b32_e32 v45, v17
	v_mov_b32_e32 v17, v37
	;; [unrolled: 1-line block ×4, first 2 shown]
	v_pk_fma_f32 v[16:17], v[26:27], s[0:1], v[16:17] op_sel_hi:[1,0,1]
	v_mov_b32_e32 v35, v43
	v_pk_add_f32 v[22:23], v[22:23], v[28:29]
	v_mov_b32_e32 v46, v42
	v_pk_fma_f32 v[44:45], v[26:27], s[0:1], v[44:45] op_sel_hi:[1,0,1]
	ds_write2_b64 v7, v[14:15], v[16:17] offset0:112 offset1:175
	v_pk_fma_f32 v[14:15], v[48:49], s[0:1], v[34:35] op_sel_hi:[1,0,1]
	v_pk_add_f32 v[22:23], v[22:23], v[30:31]
	v_pk_fma_f32 v[46:47], v[48:49], s[0:1], v[46:47] op_sel_hi:[1,0,1]
	ds_write2_b64 v11, v[38:39], v[44:45] offset0:181 offset1:244
	ds_write2_b64 v2, v[12:13], v[14:15] offset0:43 offset1:106
	;; [unrolled: 1-line block ×4, first 2 shown]
	v_pk_add_f32 v[12:13], v[64:65], v[28:29]
	v_pk_add_f32 v[14:15], v[66:67], v[30:31] neg_lo:[0,1] neg_hi:[0,1]
	v_pk_fma_f32 v[12:13], v[12:13], 0.5, v[18:19] op_sel_hi:[1,0,1] neg_lo:[1,0,0] neg_hi:[1,0,0]
	v_pk_mul_f32 v[16:17], v[14:15], s[2:3] op_sel_hi:[1,0]
	v_pk_add_f32 v[22:23], v[64:65], v[28:29] neg_lo:[0,1] neg_hi:[0,1]
	v_pk_add_f32 v[34:35], v[66:67], v[64:65] neg_lo:[0,1] neg_hi:[0,1]
	;; [unrolled: 1-line block ×3, first 2 shown]
	v_pk_mul_f32 v[26:27], v[22:23], s[4:5] op_sel_hi:[1,0]
	v_pk_add_f32 v[34:35], v[34:35], v[36:37]
	v_pk_add_f32 v[36:37], v[12:13], v[16:17] op_sel:[0,1] op_sel_hi:[1,0] neg_lo:[0,1] neg_hi:[0,1]
	v_pk_add_f32 v[12:13], v[12:13], v[16:17] op_sel:[0,1] op_sel_hi:[1,0]
	v_pk_add_f32 v[16:17], v[36:37], v[26:27] op_sel:[0,1] op_sel_hi:[1,0] neg_lo:[0,1] neg_hi:[0,1]
	v_pk_add_f32 v[36:37], v[66:67], v[30:31]
	v_pk_mul_f32 v[22:23], v[22:23], s[2:3] op_sel_hi:[1,0]
	v_pk_fma_f32 v[18:19], v[36:37], 0.5, v[18:19] op_sel_hi:[1,0,1] neg_lo:[1,0,0] neg_hi:[1,0,0]
	v_pk_add_f32 v[28:29], v[28:29], v[30:31] neg_lo:[0,1] neg_hi:[0,1]
	v_pk_mul_f32 v[14:15], v[14:15], s[4:5] op_sel_hi:[1,0]
	v_pk_add_f32 v[30:31], v[18:19], v[22:23] op_sel:[0,1] op_sel_hi:[1,0]
	v_pk_add_f32 v[18:19], v[18:19], v[22:23] op_sel:[0,1] op_sel_hi:[1,0] neg_lo:[0,1] neg_hi:[0,1]
	v_mov_b32_e32 v33, v21
	v_pk_add_f32 v[20:21], v[0:1], v[70:71]
	v_pk_add_f32 v[12:13], v[12:13], v[26:27] op_sel:[0,1] op_sel_hi:[1,0]
	v_pk_add_f32 v[36:37], v[64:65], v[66:67] neg_lo:[0,1] neg_hi:[0,1]
	v_pk_add_f32 v[18:19], v[18:19], v[14:15] op_sel:[0,1] op_sel_hi:[1,0]
	v_pk_add_f32 v[14:15], v[30:31], v[14:15] op_sel:[0,1] op_sel_hi:[1,0] neg_lo:[0,1] neg_hi:[0,1]
	v_pk_add_f32 v[20:21], v[20:21], v[68:69]
	v_mov_b32_e32 v27, v13
	v_pk_add_f32 v[28:29], v[36:37], v[28:29]
	v_mov_b32_e32 v22, v14
	v_mov_b32_e32 v23, v19
	;; [unrolled: 1-line block ×4, first 2 shown]
	v_pk_add_f32 v[20:21], v[20:21], v[24:25]
	v_pk_fma_f32 v[22:23], v[28:29], s[0:1], v[22:23] op_sel_hi:[1,0,1]
	v_pk_fma_f32 v[14:15], v[28:29], s[0:1], v[18:19] op_sel_hi:[1,0,1]
	;; [unrolled: 1-line block ×3, first 2 shown]
	v_pk_add_f32 v[20:21], v[20:21], v[32:33]
	ds_write_b64 v214, v[22:23] offset:6552
	ds_write_b64 v214, v[14:15] offset:9072
	ds_write_b64 v214, v[12:13] offset:11592
	ds_write_b64 v214, v[20:21] offset:2016
	v_pk_add_f32 v[12:13], v[68:69], v[24:25]
	v_pk_add_f32 v[14:15], v[70:71], v[32:33] neg_lo:[0,1] neg_hi:[0,1]
	v_mov_b32_e32 v26, v16
	v_pk_fma_f32 v[12:13], v[12:13], 0.5, v[0:1] op_sel_hi:[1,0,1] neg_lo:[1,0,0] neg_hi:[1,0,0]
	v_pk_mul_f32 v[16:17], v[14:15], s[2:3] op_sel_hi:[1,0]
	v_pk_add_f32 v[18:19], v[68:69], v[24:25] neg_lo:[0,1] neg_hi:[0,1]
	v_pk_add_f32 v[22:23], v[70:71], v[68:69] neg_lo:[0,1] neg_hi:[0,1]
	;; [unrolled: 1-line block ×3, first 2 shown]
	v_pk_mul_f32 v[20:21], v[18:19], s[4:5] op_sel_hi:[1,0]
	v_pk_add_f32 v[22:23], v[22:23], v[28:29]
	v_pk_add_f32 v[28:29], v[12:13], v[16:17] op_sel:[0,1] op_sel_hi:[1,0] neg_lo:[0,1] neg_hi:[0,1]
	v_pk_add_f32 v[12:13], v[12:13], v[16:17] op_sel:[0,1] op_sel_hi:[1,0]
	v_pk_add_f32 v[16:17], v[28:29], v[20:21] op_sel:[0,1] op_sel_hi:[1,0] neg_lo:[0,1] neg_hi:[0,1]
	v_pk_add_f32 v[12:13], v[12:13], v[20:21] op_sel:[0,1] op_sel_hi:[1,0]
	v_mov_b32_e32 v20, v16
	v_mov_b32_e32 v21, v13
	v_pk_fma_f32 v[26:27], v[34:35], s[0:1], v[26:27] op_sel_hi:[1,0,1]
	v_pk_fma_f32 v[20:21], v[22:23], s[0:1], v[20:21] op_sel_hi:[1,0,1]
	ds_write2_b64 v96, v[26:27], v[20:21] offset0:120 offset1:183
	v_pk_add_f32 v[20:21], v[70:71], v[32:33]
	v_pk_add_f32 v[24:25], v[24:25], v[32:33] neg_lo:[0,1] neg_hi:[0,1]
	v_pk_fma_f32 v[0:1], v[20:21], 0.5, v[0:1] op_sel_hi:[1,0,1] neg_lo:[1,0,0] neg_hi:[1,0,0]
	v_pk_add_f32 v[20:21], v[68:69], v[70:71] neg_lo:[0,1] neg_hi:[0,1]
	v_pk_mul_f32 v[18:19], v[18:19], s[2:3] op_sel_hi:[1,0]
	v_pk_add_f32 v[20:21], v[20:21], v[24:25]
	v_pk_mul_f32 v[14:15], v[14:15], s[4:5] op_sel_hi:[1,0]
	v_pk_add_f32 v[24:25], v[0:1], v[18:19] op_sel:[0,1] op_sel_hi:[1,0]
	v_pk_add_f32 v[0:1], v[0:1], v[18:19] op_sel:[0,1] op_sel_hi:[1,0] neg_lo:[0,1] neg_hi:[0,1]
	v_mov_b32_e32 v13, v17
	v_pk_add_f32 v[0:1], v[0:1], v[14:15] op_sel:[0,1] op_sel_hi:[1,0]
	v_pk_add_f32 v[14:15], v[24:25], v[14:15] op_sel:[0,1] op_sel_hi:[1,0] neg_lo:[0,1] neg_hi:[0,1]
	v_mov_b32_e32 v19, v1
	v_mov_b32_e32 v1, v15
	;; [unrolled: 1-line block ×3, first 2 shown]
	v_pk_fma_f32 v[0:1], v[20:21], s[0:1], v[0:1] op_sel_hi:[1,0,1]
	v_pk_fma_f32 v[18:19], v[20:21], s[0:1], v[18:19] op_sel_hi:[1,0,1]
	ds_write_b64 v214, v[0:1] offset:9576
	v_pk_fma_f32 v[0:1], v[22:23], s[0:1], v[12:13] op_sel_hi:[1,0,1]
	ds_write_b64 v214, v[18:19] offset:7056
	ds_write_b64 v214, v[0:1] offset:12096
	s_waitcnt lgkmcnt(0)
	; wave barrier
	s_waitcnt lgkmcnt(0)
	ds_read2_b64 v[12:15], v214 offset1:63
	v_accvgpr_read_b32 v16, a52
	v_mad_u64_u32 v[0:1], s[0:1], s11, v104, v[8:9]
	v_accvgpr_read_b32 v17, a53
	v_mov_b32_e32 v7, v0
	s_waitcnt lgkmcnt(0)
	v_mul_f32_e32 v0, v17, v13
	v_fmac_f32_e32 v0, v16, v12
	s_mov_b32 s0, 0xae67b348
	v_cvt_f64_f32_e32 v[0:1], v0
	s_mov_b32 s1, 0x3f44ce19
	v_mul_f64 v[0:1], v[0:1], s[0:1]
	v_cvt_f32_f64_e32 v0, v[0:1]
	v_mul_f32_e32 v1, v17, v12
	v_fma_f32 v1, v16, v13, -v1
	v_cvt_f64_f32_e32 v[12:13], v1
	v_mul_f64 v[12:13], v[12:13], s[0:1]
	v_accvgpr_read_b32 v16, a30
	v_cvt_f32_f64_e32 v1, v[12:13]
	v_mad_u64_u32 v[12:13], s[2:3], s8, v16, 0
	v_mov_b32_e32 v8, v13
	v_mad_u64_u32 v[20:21], s[2:3], s9, v16, v[8:9]
	ds_read2_b64 v[16:19], v11 offset0:13 offset1:76
	v_mov_b32_e32 v13, v20
	v_lshl_add_u64 v[4:5], v[6:7], 3, v[4:5]
	v_lshl_add_u64 v[12:13], v[12:13], 3, v[4:5]
	v_accvgpr_read_b32 v4, a50
	v_accvgpr_read_b32 v5, a51
	global_store_dwordx2 v[12:13], v[0:1], off
	s_waitcnt lgkmcnt(0)
	v_mul_f32_e32 v0, v5, v17
	v_fmac_f32_e32 v0, v4, v16
	v_cvt_f64_f32_e32 v[0:1], v0
	v_mul_f64 v[0:1], v[0:1], s[0:1]
	v_cvt_f32_f64_e32 v0, v[0:1]
	v_mul_f32_e32 v1, v5, v16
	v_fma_f32 v1, v4, v17, -v1
	v_cvt_f64_f32_e32 v[4:5], v1
	v_mul_f64 v[4:5], v[4:5], s[0:1]
	v_cvt_f32_f64_e32 v1, v[4:5]
	ds_read2_b64 v[4:7], v97 offset0:26 offset1:89
	s_mul_i32 s2, s9, 0x20d
	s_mul_hi_u32 s3, s8, 0x20d
	s_add_i32 s3, s3, s2
	s_mul_i32 s2, s8, 0x20d
	s_lshl_b64 s[2:3], s[2:3], 3
	v_accvgpr_read_b32 v16, a46
	v_lshl_add_u64 v[12:13], v[12:13], 0, s[2:3]
	v_accvgpr_read_b32 v17, a47
	global_store_dwordx2 v[12:13], v[0:1], off
	s_waitcnt lgkmcnt(0)
	v_mul_f32_e32 v0, v17, v5
	v_fmac_f32_e32 v0, v16, v4
	v_cvt_f64_f32_e32 v[0:1], v0
	v_mul_f64 v[0:1], v[0:1], s[0:1]
	v_cvt_f32_f64_e32 v0, v[0:1]
	v_mul_f32_e32 v1, v17, v4
	v_fma_f32 v1, v16, v5, -v1
	v_cvt_f64_f32_e32 v[4:5], v1
	v_mul_f64 v[4:5], v[4:5], s[0:1]
	v_cvt_f32_f64_e32 v1, v[4:5]
	v_lshl_add_u64 v[4:5], v[12:13], 0, s[2:3]
	v_accvgpr_read_b32 v12, a48
	v_accvgpr_read_b32 v13, a49
	global_store_dwordx2 v[4:5], v[0:1], off
	v_mul_f32_e32 v0, v13, v15
	v_fmac_f32_e32 v0, v12, v14
	v_cvt_f64_f32_e32 v[0:1], v0
	v_mul_f64 v[0:1], v[0:1], s[0:1]
	v_cvt_f32_f64_e32 v0, v[0:1]
	v_mul_f32_e32 v1, v13, v14
	v_fma_f32 v1, v12, v15, -v1
	s_mul_hi_u32 s5, s8, 0xfffffc25
	v_cvt_f64_f32_e32 v[12:13], v1
	s_mul_i32 s4, s9, 0xfffffc25
	s_sub_i32 s5, s5, s8
	v_mul_f64 v[12:13], v[12:13], s[0:1]
	s_add_i32 s5, s5, s4
	s_mul_i32 s4, s8, 0xfffffc25
	v_cvt_f32_f64_e32 v1, v[12:13]
	s_lshl_b64 s[8:9], s[4:5], 3
	v_accvgpr_read_b32 v12, a44
	v_lshl_add_u64 v[4:5], v[4:5], 0, s[8:9]
	v_accvgpr_read_b32 v13, a45
	global_store_dwordx2 v[4:5], v[0:1], off
	v_mul_f32_e32 v0, v13, v19
	v_fmac_f32_e32 v0, v12, v18
	v_cvt_f64_f32_e32 v[0:1], v0
	v_mul_f64 v[0:1], v[0:1], s[0:1]
	v_cvt_f32_f64_e32 v0, v[0:1]
	v_mul_f32_e32 v1, v13, v18
	v_fma_f32 v1, v12, v19, -v1
	v_cvt_f64_f32_e32 v[12:13], v1
	v_mul_f64 v[12:13], v[12:13], s[0:1]
	v_cvt_f32_f64_e32 v1, v[12:13]
	v_lshl_add_u64 v[12:13], v[4:5], 0, s[2:3]
	v_accvgpr_read_b32 v4, a42
	v_accvgpr_read_b32 v5, a43
	global_store_dwordx2 v[12:13], v[0:1], off
	v_mul_f32_e32 v0, v5, v7
	v_fmac_f32_e32 v0, v4, v6
	v_cvt_f64_f32_e32 v[0:1], v0
	v_mul_f64 v[0:1], v[0:1], s[0:1]
	v_cvt_f32_f64_e32 v0, v[0:1]
	v_mul_f32_e32 v1, v5, v6
	v_fma_f32 v1, v4, v7, -v1
	ds_read2_b64 v[4:7], v214 offset0:126 offset1:189
	v_cvt_f64_f32_e32 v[14:15], v1
	v_mul_f64 v[14:15], v[14:15], s[0:1]
	v_lshl_add_u64 v[16:17], v[12:13], 0, s[2:3]
	v_accvgpr_read_b32 v12, a36
	v_cvt_f32_f64_e32 v1, v[14:15]
	v_accvgpr_read_b32 v13, a37
	global_store_dwordx2 v[16:17], v[0:1], off
	s_waitcnt lgkmcnt(0)
	v_mul_f32_e32 v0, v13, v5
	v_fmac_f32_e32 v0, v12, v4
	v_cvt_f64_f32_e32 v[0:1], v0
	v_mul_f64 v[0:1], v[0:1], s[0:1]
	v_cvt_f32_f64_e32 v0, v[0:1]
	v_mul_f32_e32 v1, v13, v4
	v_fma_f32 v1, v12, v5, -v1
	ds_read2_b64 v[12:15], v11 offset0:139 offset1:202
	v_cvt_f64_f32_e32 v[4:5], v1
	v_mul_f64 v[4:5], v[4:5], s[0:1]
	v_cvt_f32_f64_e32 v1, v[4:5]
	v_lshl_add_u64 v[4:5], v[16:17], 0, s[8:9]
	v_accvgpr_read_b32 v16, a32
	v_accvgpr_read_b32 v17, a33
	global_store_dwordx2 v[4:5], v[0:1], off
	s_waitcnt lgkmcnt(0)
	v_mul_f32_e32 v0, v17, v13
	v_fmac_f32_e32 v0, v16, v12
	v_cvt_f64_f32_e32 v[0:1], v0
	v_mul_f64 v[0:1], v[0:1], s[0:1]
	v_cvt_f32_f64_e32 v0, v[0:1]
	v_mul_f32_e32 v1, v17, v12
	v_fma_f32 v1, v16, v13, -v1
	ds_read2_b64 v[16:19], v97 offset0:152 offset1:215
	v_cvt_f64_f32_e32 v[12:13], v1
	v_mul_f64 v[12:13], v[12:13], s[0:1]
	v_cvt_f32_f64_e32 v1, v[12:13]
	v_accvgpr_read_b32 v12, a38
	v_lshl_add_u64 v[4:5], v[4:5], 0, s[2:3]
	v_accvgpr_read_b32 v13, a39
	global_store_dwordx2 v[4:5], v[0:1], off
	s_waitcnt lgkmcnt(0)
	v_mul_f32_e32 v0, v13, v17
	v_fmac_f32_e32 v0, v12, v16
	v_cvt_f64_f32_e32 v[0:1], v0
	v_mul_f64 v[0:1], v[0:1], s[0:1]
	v_cvt_f32_f64_e32 v0, v[0:1]
	v_mul_f32_e32 v1, v13, v16
	v_fma_f32 v1, v12, v17, -v1
	v_cvt_f64_f32_e32 v[12:13], v1
	v_mul_f64 v[12:13], v[12:13], s[0:1]
	v_cvt_f32_f64_e32 v1, v[12:13]
	v_accvgpr_read_b32 v12, a28
	v_lshl_add_u64 v[4:5], v[4:5], 0, s[2:3]
	v_accvgpr_read_b32 v13, a29
	global_store_dwordx2 v[4:5], v[0:1], off
	v_mul_f32_e32 v0, v13, v7
	v_fmac_f32_e32 v0, v12, v6
	v_cvt_f64_f32_e32 v[0:1], v0
	v_mul_f64 v[0:1], v[0:1], s[0:1]
	v_cvt_f32_f64_e32 v0, v[0:1]
	v_mul_f32_e32 v1, v13, v6
	v_fma_f32 v1, v12, v7, -v1
	v_cvt_f64_f32_e32 v[6:7], v1
	v_mul_f64 v[6:7], v[6:7], s[0:1]
	v_cvt_f32_f64_e32 v1, v[6:7]
	v_accvgpr_read_b32 v6, a26
	v_lshl_add_u64 v[4:5], v[4:5], 0, s[8:9]
	v_accvgpr_read_b32 v7, a27
	global_store_dwordx2 v[4:5], v[0:1], off
	v_mul_f32_e32 v0, v7, v15
	v_fmac_f32_e32 v0, v6, v14
	v_cvt_f64_f32_e32 v[0:1], v0
	v_mul_f64 v[0:1], v[0:1], s[0:1]
	v_cvt_f32_f64_e32 v0, v[0:1]
	v_mul_f32_e32 v1, v7, v14
	v_fma_f32 v1, v6, v15, -v1
	v_cvt_f64_f32_e32 v[6:7], v1
	v_mul_f64 v[6:7], v[6:7], s[0:1]
	v_lshl_add_u64 v[12:13], v[4:5], 0, s[2:3]
	v_accvgpr_read_b32 v4, a24
	v_cvt_f32_f64_e32 v1, v[6:7]
	v_accvgpr_read_b32 v5, a25
	global_store_dwordx2 v[12:13], v[0:1], off
	v_mul_f32_e32 v0, v5, v19
	v_fmac_f32_e32 v0, v4, v18
	v_cvt_f64_f32_e32 v[0:1], v0
	v_mul_f64 v[0:1], v[0:1], s[0:1]
	v_cvt_f32_f64_e32 v0, v[0:1]
	v_mul_f32_e32 v1, v5, v18
	v_fma_f32 v1, v4, v19, -v1
	ds_read2_b64 v[4:7], v10 offset0:124 offset1:187
	v_cvt_f64_f32_e32 v[14:15], v1
	v_mul_f64 v[10:11], v[14:15], s[0:1]
	v_cvt_f32_f64_e32 v1, v[10:11]
	v_accvgpr_read_b32 v10, a34
	v_lshl_add_u64 v[14:15], v[12:13], 0, s[2:3]
	v_accvgpr_read_b32 v11, a35
	global_store_dwordx2 v[14:15], v[0:1], off
	s_waitcnt lgkmcnt(0)
	v_mul_f32_e32 v0, v11, v5
	v_fmac_f32_e32 v0, v10, v4
	v_cvt_f64_f32_e32 v[0:1], v0
	v_mul_f64 v[0:1], v[0:1], s[0:1]
	v_cvt_f32_f64_e32 v0, v[0:1]
	v_mul_f32_e32 v1, v11, v4
	v_fma_f32 v1, v10, v5, -v1
	ds_read2_b64 v[10:13], v9 offset0:9 offset1:72
	v_cvt_f64_f32_e32 v[4:5], v1
	v_mul_f64 v[4:5], v[4:5], s[0:1]
	v_cvt_f32_f64_e32 v1, v[4:5]
	v_lshl_add_u64 v[4:5], v[14:15], 0, s[8:9]
	v_accvgpr_read_b32 v15, a13
	global_store_dwordx2 v[4:5], v[0:1], off
	v_accvgpr_read_b32 v14, a12
	s_waitcnt lgkmcnt(0)
	v_mul_f32_e32 v0, v15, v11
	v_fmac_f32_e32 v0, v14, v10
	v_cvt_f64_f32_e32 v[0:1], v0
	v_mul_f64 v[0:1], v[0:1], s[0:1]
	v_cvt_f32_f64_e32 v0, v[0:1]
	v_mul_f32_e32 v1, v15, v10
	v_fma_f32 v1, v14, v11, -v1
	ds_read2_b64 v[14:17], v2 offset0:22 offset1:85
	v_cvt_f64_f32_e32 v[10:11], v1
	v_mul_f64 v[10:11], v[10:11], s[0:1]
	v_cvt_f32_f64_e32 v1, v[10:11]
	v_accvgpr_read_b32 v10, a18
	v_lshl_add_u64 v[4:5], v[4:5], 0, s[2:3]
	v_accvgpr_read_b32 v11, a19
	global_store_dwordx2 v[4:5], v[0:1], off
	s_waitcnt lgkmcnt(0)
	v_mul_f32_e32 v0, v11, v15
	v_fmac_f32_e32 v0, v10, v14
	v_cvt_f64_f32_e32 v[0:1], v0
	v_mul_f64 v[0:1], v[0:1], s[0:1]
	v_cvt_f32_f64_e32 v0, v[0:1]
	v_mul_f32_e32 v1, v11, v14
	v_fma_f32 v1, v10, v15, -v1
	v_cvt_f64_f32_e32 v[10:11], v1
	v_mul_f64 v[10:11], v[10:11], s[0:1]
	v_cvt_f32_f64_e32 v1, v[10:11]
	v_accvgpr_read_b32 v10, a20
	v_lshl_add_u64 v[4:5], v[4:5], 0, s[2:3]
	v_accvgpr_read_b32 v11, a21
	global_store_dwordx2 v[4:5], v[0:1], off
	v_mul_f32_e32 v0, v11, v7
	v_fmac_f32_e32 v0, v10, v6
	v_cvt_f64_f32_e32 v[0:1], v0
	v_mul_f64 v[0:1], v[0:1], s[0:1]
	v_cvt_f32_f64_e32 v0, v[0:1]
	v_mul_f32_e32 v1, v11, v6
	v_fma_f32 v1, v10, v7, -v1
	v_cvt_f64_f32_e32 v[6:7], v1
	v_mul_f64 v[6:7], v[6:7], s[0:1]
	v_cvt_f32_f64_e32 v1, v[6:7]
	v_accvgpr_read_b32 v6, a22
	v_lshl_add_u64 v[4:5], v[4:5], 0, s[8:9]
	v_accvgpr_read_b32 v7, a23
	global_store_dwordx2 v[4:5], v[0:1], off
	v_mul_f32_e32 v0, v7, v13
	v_fmac_f32_e32 v0, v6, v12
	v_cvt_f64_f32_e32 v[0:1], v0
	v_mul_f64 v[0:1], v[0:1], s[0:1]
	v_cvt_f32_f64_e32 v0, v[0:1]
	v_mul_f32_e32 v1, v7, v12
	v_fma_f32 v1, v6, v13, -v1
	v_cvt_f64_f32_e32 v[6:7], v1
	v_mul_f64 v[6:7], v[6:7], s[0:1]
	v_lshl_add_u64 v[10:11], v[4:5], 0, s[2:3]
	v_accvgpr_read_b32 v4, a16
	v_cvt_f32_f64_e32 v1, v[6:7]
	v_accvgpr_read_b32 v5, a17
	global_store_dwordx2 v[10:11], v[0:1], off
	v_mul_f32_e32 v0, v5, v17
	v_fmac_f32_e32 v0, v4, v16
	v_cvt_f64_f32_e32 v[0:1], v0
	v_mul_f64 v[0:1], v[0:1], s[0:1]
	v_cvt_f32_f64_e32 v0, v[0:1]
	v_mul_f32_e32 v1, v5, v16
	v_fma_f32 v1, v4, v17, -v1
	ds_read2_b64 v[4:7], v3 offset0:122 offset1:185
	v_cvt_f64_f32_e32 v[12:13], v1
	v_mul_f64 v[12:13], v[12:13], s[0:1]
	v_cvt_f32_f64_e32 v1, v[12:13]
	v_lshl_add_u64 v[12:13], v[10:11], 0, s[2:3]
	v_accvgpr_read_b32 v10, a14
	v_accvgpr_read_b32 v11, a15
	global_store_dwordx2 v[12:13], v[0:1], off
	s_waitcnt lgkmcnt(0)
	v_mul_f32_e32 v0, v11, v5
	v_fmac_f32_e32 v0, v10, v4
	v_cvt_f64_f32_e32 v[0:1], v0
	v_mul_f64 v[0:1], v[0:1], s[0:1]
	v_cvt_f32_f64_e32 v0, v[0:1]
	v_mul_f32_e32 v1, v11, v4
	v_fma_f32 v1, v10, v5, -v1
	ds_read2_b64 v[8:11], v9 offset0:135 offset1:198
	v_cvt_f64_f32_e32 v[4:5], v1
	v_mul_f64 v[4:5], v[4:5], s[0:1]
	v_cvt_f32_f64_e32 v1, v[4:5]
	v_lshl_add_u64 v[4:5], v[12:13], 0, s[8:9]
	v_accvgpr_read_b32 v15, a11
	global_store_dwordx2 v[4:5], v[0:1], off
	v_accvgpr_read_b32 v14, a10
	s_waitcnt lgkmcnt(0)
	v_mul_f32_e32 v0, v15, v9
	v_fmac_f32_e32 v0, v14, v8
	v_cvt_f64_f32_e32 v[0:1], v0
	v_mul_f64 v[0:1], v[0:1], s[0:1]
	v_cvt_f32_f64_e32 v12, v[0:1]
	v_mul_f32_e32 v0, v15, v8
	v_fma_f32 v0, v14, v9, -v0
	v_cvt_f64_f32_e32 v[8:9], v0
	ds_read2_b64 v[0:3], v2 offset0:148 offset1:211
	v_mul_f64 v[8:9], v[8:9], s[0:1]
	v_cvt_f32_f64_e32 v13, v[8:9]
	v_lshl_add_u64 v[4:5], v[4:5], 0, s[2:3]
	global_store_dwordx2 v[4:5], v[12:13], off
	v_accvgpr_read_b32 v13, a5
	v_accvgpr_read_b32 v12, a4
	s_waitcnt lgkmcnt(0)
	v_mul_f32_e32 v8, v13, v1
	v_fmac_f32_e32 v8, v12, v0
	v_mul_f32_e32 v0, v13, v0
	v_fma_f32 v0, v12, v1, -v0
	v_cvt_f64_f32_e32 v[8:9], v8
	v_cvt_f64_f32_e32 v[0:1], v0
	v_mul_f64 v[8:9], v[8:9], s[0:1]
	v_mul_f64 v[0:1], v[0:1], s[0:1]
	v_cvt_f32_f64_e32 v8, v[8:9]
	v_cvt_f32_f64_e32 v9, v[0:1]
	v_lshl_add_u64 v[0:1], v[4:5], 0, s[2:3]
	global_store_dwordx2 v[0:1], v[8:9], off
	v_accvgpr_read_b32 v9, a7
	v_accvgpr_read_b32 v8, a6
	v_mul_f32_e32 v4, v9, v7
	v_fmac_f32_e32 v4, v8, v6
	v_cvt_f64_f32_e32 v[4:5], v4
	v_mul_f64 v[4:5], v[4:5], s[0:1]
	v_cvt_f32_f64_e32 v4, v[4:5]
	v_mul_f32_e32 v5, v9, v6
	v_fma_f32 v5, v8, v7, -v5
	v_cvt_f64_f32_e32 v[6:7], v5
	v_mul_f64 v[6:7], v[6:7], s[0:1]
	v_cvt_f32_f64_e32 v5, v[6:7]
	v_accvgpr_read_b32 v6, a8
	v_lshl_add_u64 v[0:1], v[0:1], 0, s[8:9]
	v_accvgpr_read_b32 v7, a9
	global_store_dwordx2 v[0:1], v[4:5], off
	v_mul_f32_e32 v4, v7, v11
	v_fmac_f32_e32 v4, v6, v10
	v_cvt_f64_f32_e32 v[4:5], v4
	v_mul_f64 v[4:5], v[4:5], s[0:1]
	v_cvt_f32_f64_e32 v4, v[4:5]
	v_mul_f32_e32 v5, v7, v10
	v_fma_f32 v5, v6, v11, -v5
	v_cvt_f64_f32_e32 v[6:7], v5
	v_mul_f64 v[6:7], v[6:7], s[0:1]
	v_cvt_f32_f64_e32 v5, v[6:7]
	v_lshl_add_u64 v[0:1], v[0:1], 0, s[2:3]
	v_accvgpr_read_b32 v7, a3
	global_store_dwordx2 v[0:1], v[4:5], off
	v_accvgpr_read_b32 v6, a2
	v_mul_f32_e32 v4, v7, v3
	v_fmac_f32_e32 v4, v6, v2
	v_mul_f32_e32 v2, v7, v2
	v_fma_f32 v2, v6, v3, -v2
	v_cvt_f64_f32_e32 v[4:5], v4
	v_cvt_f64_f32_e32 v[2:3], v2
	v_mul_f64 v[4:5], v[4:5], s[0:1]
	v_mul_f64 v[2:3], v[2:3], s[0:1]
	v_cvt_f32_f64_e32 v4, v[4:5]
	v_cvt_f32_f64_e32 v5, v[2:3]
	v_lshl_add_u64 v[0:1], v[0:1], 0, s[2:3]
	global_store_dwordx2 v[0:1], v[4:5], off
	s_and_b64 exec, exec, s[6:7]
	s_cbranch_execz .LBB0_31
; %bb.30:
	v_accvgpr_read_b32 v15, a1
	v_accvgpr_read_b32 v14, a0
	global_load_dwordx2 v[2:3], v[14:15], off offset:4032
	ds_read_b64 v[6:7], v214 offset:4032
	ds_read_b64 v[8:9], v214 offset:8232
	;; [unrolled: 1-line block ×3, first 2 shown]
	v_lshl_add_u64 v[0:1], s[4:5], 3, v[0:1]
	v_add_co_u32_e32 v4, vcc, s10, v14
	s_movk_i32 s4, 0x3000
	s_nop 0
	v_addc_co_u32_e32 v5, vcc, 0, v15, vcc
	s_waitcnt vmcnt(0) lgkmcnt(2)
	v_mul_f32_e32 v12, v7, v3
	v_mul_f32_e32 v3, v6, v3
	v_fmac_f32_e32 v12, v6, v2
	v_fma_f32 v6, v2, v7, -v3
	v_cvt_f64_f32_e32 v[2:3], v12
	v_cvt_f64_f32_e32 v[6:7], v6
	v_mul_f64 v[2:3], v[2:3], s[0:1]
	v_mul_f64 v[6:7], v[6:7], s[0:1]
	v_cvt_f32_f64_e32 v2, v[2:3]
	v_cvt_f32_f64_e32 v3, v[6:7]
	global_store_dwordx2 v[0:1], v[2:3], off
	global_load_dwordx2 v[2:3], v[4:5], off offset:40
	v_lshl_add_u64 v[0:1], v[0:1], 0, s[2:3]
	v_add_co_u32_e32 v4, vcc, s4, v14
	s_waitcnt vmcnt(0) lgkmcnt(1)
	v_mul_f32_e32 v6, v9, v3
	v_mul_f32_e32 v3, v8, v3
	v_fmac_f32_e32 v6, v8, v2
	v_fma_f32 v7, v2, v9, -v3
	v_cvt_f64_f32_e32 v[2:3], v6
	v_cvt_f64_f32_e32 v[6:7], v7
	v_mul_f64 v[2:3], v[2:3], s[0:1]
	v_mul_f64 v[6:7], v[6:7], s[0:1]
	v_cvt_f32_f64_e32 v2, v[2:3]
	v_cvt_f32_f64_e32 v3, v[6:7]
	v_addc_co_u32_e32 v5, vcc, 0, v15, vcc
	global_store_dwordx2 v[0:1], v[2:3], off
	global_load_dwordx2 v[2:3], v[4:5], off offset:144
	v_lshl_add_u64 v[0:1], v[0:1], 0, s[2:3]
	s_waitcnt vmcnt(0) lgkmcnt(0)
	v_mul_f32_e32 v4, v11, v3
	v_mul_f32_e32 v3, v10, v3
	v_fmac_f32_e32 v4, v10, v2
	v_fma_f32 v5, v2, v11, -v3
	v_cvt_f64_f32_e32 v[2:3], v4
	v_cvt_f64_f32_e32 v[4:5], v5
	v_mul_f64 v[2:3], v[2:3], s[0:1]
	v_mul_f64 v[4:5], v[4:5], s[0:1]
	v_cvt_f32_f64_e32 v2, v[2:3]
	v_cvt_f32_f64_e32 v3, v[4:5]
	global_store_dwordx2 v[0:1], v[2:3], off
.LBB0_31:
	s_endpgm
	.section	.rodata,"a",@progbits
	.p2align	6, 0x0
	.amdhsa_kernel bluestein_single_back_len1575_dim1_sp_op_CI_CI
		.amdhsa_group_segment_fixed_size 12600
		.amdhsa_private_segment_fixed_size 0
		.amdhsa_kernarg_size 104
		.amdhsa_user_sgpr_count 2
		.amdhsa_user_sgpr_dispatch_ptr 0
		.amdhsa_user_sgpr_queue_ptr 0
		.amdhsa_user_sgpr_kernarg_segment_ptr 1
		.amdhsa_user_sgpr_dispatch_id 0
		.amdhsa_user_sgpr_kernarg_preload_length 0
		.amdhsa_user_sgpr_kernarg_preload_offset 0
		.amdhsa_user_sgpr_private_segment_size 0
		.amdhsa_uses_dynamic_stack 0
		.amdhsa_enable_private_segment 0
		.amdhsa_system_sgpr_workgroup_id_x 1
		.amdhsa_system_sgpr_workgroup_id_y 0
		.amdhsa_system_sgpr_workgroup_id_z 0
		.amdhsa_system_sgpr_workgroup_info 0
		.amdhsa_system_vgpr_workitem_id 0
		.amdhsa_next_free_vgpr 377
		.amdhsa_next_free_sgpr 32
		.amdhsa_accum_offset 256
		.amdhsa_reserve_vcc 1
		.amdhsa_float_round_mode_32 0
		.amdhsa_float_round_mode_16_64 0
		.amdhsa_float_denorm_mode_32 3
		.amdhsa_float_denorm_mode_16_64 3
		.amdhsa_dx10_clamp 1
		.amdhsa_ieee_mode 1
		.amdhsa_fp16_overflow 0
		.amdhsa_tg_split 0
		.amdhsa_exception_fp_ieee_invalid_op 0
		.amdhsa_exception_fp_denorm_src 0
		.amdhsa_exception_fp_ieee_div_zero 0
		.amdhsa_exception_fp_ieee_overflow 0
		.amdhsa_exception_fp_ieee_underflow 0
		.amdhsa_exception_fp_ieee_inexact 0
		.amdhsa_exception_int_div_zero 0
	.end_amdhsa_kernel
	.text
.Lfunc_end0:
	.size	bluestein_single_back_len1575_dim1_sp_op_CI_CI, .Lfunc_end0-bluestein_single_back_len1575_dim1_sp_op_CI_CI
                                        ; -- End function
	.section	.AMDGPU.csdata,"",@progbits
; Kernel info:
; codeLenInByte = 30856
; NumSgprs: 38
; NumVgprs: 256
; NumAgprs: 121
; TotalNumVgprs: 377
; ScratchSize: 0
; MemoryBound: 0
; FloatMode: 240
; IeeeMode: 1
; LDSByteSize: 12600 bytes/workgroup (compile time only)
; SGPRBlocks: 4
; VGPRBlocks: 47
; NumSGPRsForWavesPerEU: 38
; NumVGPRsForWavesPerEU: 377
; AccumOffset: 256
; Occupancy: 1
; WaveLimiterHint : 1
; COMPUTE_PGM_RSRC2:SCRATCH_EN: 0
; COMPUTE_PGM_RSRC2:USER_SGPR: 2
; COMPUTE_PGM_RSRC2:TRAP_HANDLER: 0
; COMPUTE_PGM_RSRC2:TGID_X_EN: 1
; COMPUTE_PGM_RSRC2:TGID_Y_EN: 0
; COMPUTE_PGM_RSRC2:TGID_Z_EN: 0
; COMPUTE_PGM_RSRC2:TIDIG_COMP_CNT: 0
; COMPUTE_PGM_RSRC3_GFX90A:ACCUM_OFFSET: 63
; COMPUTE_PGM_RSRC3_GFX90A:TG_SPLIT: 0
	.text
	.p2alignl 6, 3212836864
	.fill 256, 4, 3212836864
	.type	__hip_cuid_f4999b754b06ca81,@object ; @__hip_cuid_f4999b754b06ca81
	.section	.bss,"aw",@nobits
	.globl	__hip_cuid_f4999b754b06ca81
__hip_cuid_f4999b754b06ca81:
	.byte	0                               ; 0x0
	.size	__hip_cuid_f4999b754b06ca81, 1

	.ident	"AMD clang version 19.0.0git (https://github.com/RadeonOpenCompute/llvm-project roc-6.4.0 25133 c7fe45cf4b819c5991fe208aaa96edf142730f1d)"
	.section	".note.GNU-stack","",@progbits
	.addrsig
	.addrsig_sym __hip_cuid_f4999b754b06ca81
	.amdgpu_metadata
---
amdhsa.kernels:
  - .agpr_count:     121
    .args:
      - .actual_access:  read_only
        .address_space:  global
        .offset:         0
        .size:           8
        .value_kind:     global_buffer
      - .actual_access:  read_only
        .address_space:  global
        .offset:         8
        .size:           8
        .value_kind:     global_buffer
      - .actual_access:  read_only
        .address_space:  global
        .offset:         16
        .size:           8
        .value_kind:     global_buffer
      - .actual_access:  read_only
        .address_space:  global
        .offset:         24
        .size:           8
        .value_kind:     global_buffer
      - .actual_access:  read_only
        .address_space:  global
        .offset:         32
        .size:           8
        .value_kind:     global_buffer
      - .offset:         40
        .size:           8
        .value_kind:     by_value
      - .address_space:  global
        .offset:         48
        .size:           8
        .value_kind:     global_buffer
      - .address_space:  global
        .offset:         56
        .size:           8
        .value_kind:     global_buffer
      - .address_space:  global
        .offset:         64
        .size:           8
        .value_kind:     global_buffer
      - .address_space:  global
        .offset:         72
        .size:           8
        .value_kind:     global_buffer
      - .offset:         80
        .size:           4
        .value_kind:     by_value
      - .address_space:  global
        .offset:         88
        .size:           8
        .value_kind:     global_buffer
      - .address_space:  global
        .offset:         96
        .size:           8
        .value_kind:     global_buffer
    .group_segment_fixed_size: 12600
    .kernarg_segment_align: 8
    .kernarg_segment_size: 104
    .language:       OpenCL C
    .language_version:
      - 2
      - 0
    .max_flat_workgroup_size: 63
    .name:           bluestein_single_back_len1575_dim1_sp_op_CI_CI
    .private_segment_fixed_size: 0
    .sgpr_count:     38
    .sgpr_spill_count: 0
    .symbol:         bluestein_single_back_len1575_dim1_sp_op_CI_CI.kd
    .uniform_work_group_size: 1
    .uses_dynamic_stack: false
    .vgpr_count:     377
    .vgpr_spill_count: 0
    .wavefront_size: 64
amdhsa.target:   amdgcn-amd-amdhsa--gfx950
amdhsa.version:
  - 1
  - 2
...

	.end_amdgpu_metadata
